;; amdgpu-corpus repo=ROCm/rocFFT kind=compiled arch=gfx950 opt=O3
	.text
	.amdgcn_target "amdgcn-amd-amdhsa--gfx950"
	.amdhsa_code_object_version 6
	.protected	bluestein_single_fwd_len504_dim1_sp_op_CI_CI ; -- Begin function bluestein_single_fwd_len504_dim1_sp_op_CI_CI
	.globl	bluestein_single_fwd_len504_dim1_sp_op_CI_CI
	.p2align	8
	.type	bluestein_single_fwd_len504_dim1_sp_op_CI_CI,@function
bluestein_single_fwd_len504_dim1_sp_op_CI_CI: ; @bluestein_single_fwd_len504_dim1_sp_op_CI_CI
; %bb.0:
	s_load_dwordx4 s[4:7], s[0:1], 0x28
	v_mul_u32_u24_e32 v1, 0x411, v0
	v_mov_b32_e32 v51, 0
	v_add_u32_sdwa v58, s2, v1 dst_sel:DWORD dst_unused:UNUSED_PAD src0_sel:DWORD src1_sel:WORD_1
	v_mov_b32_e32 v59, v51
	s_waitcnt lgkmcnt(0)
	v_cmp_gt_u64_e32 vcc, s[4:5], v[58:59]
	s_and_saveexec_b64 s[2:3], vcc
	s_cbranch_execz .LBB0_27
; %bb.1:
	s_load_dwordx4 s[8:11], s[0:1], 0x18
	s_load_dwordx2 s[14:15], s[0:1], 0x0
	v_mov_b32_e32 v2, s6
	v_mov_b32_e32 v3, s7
	;; [unrolled: 1-line block ×3, first 2 shown]
	s_waitcnt lgkmcnt(0)
	s_load_dwordx4 s[4:7], s[8:9], 0x0
	v_mul_lo_u16_sdwa v1, v1, v4 dst_sel:DWORD dst_unused:UNUSED_PAD src0_sel:WORD_1 src1_sel:DWORD
	v_sub_u16_e32 v50, v0, v1
	v_lshlrev_b32_e32 v46, 3, v50
	global_load_dwordx2 v[66:67], v46, s[14:15]
	s_waitcnt lgkmcnt(0)
	v_mad_u64_u32 v[0:1], s[2:3], s6, v58, 0
	v_mov_b32_e32 v4, v1
	v_mad_u64_u32 v[4:5], s[2:3], s7, v58, v[4:5]
	v_mov_b32_e32 v1, v4
	v_mad_u64_u32 v[4:5], s[2:3], s4, v50, 0
	v_mov_b32_e32 v6, v5
	v_mad_u64_u32 v[6:7], s[2:3], s5, v50, v[6:7]
	s_mul_i32 s2, s5, 0x48
	s_mul_hi_u32 s3, s4, 0x48
	v_mov_b32_e32 v5, v6
	v_lshl_add_u64 v[0:1], v[0:1], 3, v[2:3]
	s_add_i32 s3, s3, s2
	s_mul_i32 s2, s4, 0x48
	v_lshl_add_u64 v[0:1], v[4:5], 3, v[0:1]
	s_lshl_b64 s[2:3], s[2:3], 3
	global_load_dwordx2 v[4:5], v[0:1], off
	v_lshl_add_u64 v[0:1], v[0:1], 0, s[2:3]
	global_load_dwordx2 v[6:7], v[0:1], off
	global_load_dwordx2 v[64:65], v46, s[14:15] offset:576
	v_lshl_add_u64 v[0:1], v[0:1], 0, s[2:3]
	global_load_dwordx2 v[62:63], v46, s[14:15] offset:1152
	global_load_dwordx2 v[8:9], v[0:1], off
	v_lshl_add_u64 v[0:1], v[0:1], 0, s[2:3]
	global_load_dwordx2 v[10:11], v[0:1], off
	global_load_dwordx2 v[60:61], v46, s[14:15] offset:1728
	v_lshl_add_u64 v[0:1], v[0:1], 0, s[2:3]
	global_load_dwordx2 v[12:13], v[0:1], off
	global_load_dwordx2 v[56:57], v46, s[14:15] offset:2304
	;; [unrolled: 3-line block ×3, first 2 shown]
	v_lshl_add_u64 v[0:1], v[0:1], 0, s[2:3]
	global_load_dwordx2 v[52:53], v46, s[14:15] offset:3456
	global_load_dwordx2 v[16:17], v[0:1], off
	s_load_dwordx2 s[12:13], s[0:1], 0x38
	v_mov_b32_e32 v47, v51
	s_load_dwordx4 s[8:11], s[10:11], 0x0
	v_cmp_lt_u16_e64 s[6:7], 8, v50
	v_add_u32_e32 v2, 0x800, v46
	v_lshl_add_u64 v[48:49], s[14:15], 0, v[46:47]
	v_cmp_gt_u16_e32 vcc, 9, v50
	s_waitcnt vmcnt(12)
	v_mul_f32_e32 v3, v4, v67
	v_mul_f32_e32 v18, v5, v67
	v_fma_f32 v19, v5, v66, -v3
	s_waitcnt vmcnt(10)
	v_mul_f32_e32 v3, v6, v65
	v_fmac_f32_e32 v18, v4, v66
	v_mul_f32_e32 v4, v7, v65
	v_fma_f32 v5, v7, v64, -v3
	s_waitcnt vmcnt(8)
	v_mul_f32_e32 v3, v8, v63
	v_fmac_f32_e32 v4, v6, v64
	v_fma_f32 v7, v9, v62, -v3
	s_waitcnt vmcnt(6)
	v_mul_f32_e32 v3, v10, v61
	v_mul_f32_e32 v6, v9, v63
	ds_write2_b64 v46, v[18:19], v[4:5] offset1:72
	v_mul_f32_e32 v4, v11, v61
	v_fma_f32 v5, v11, v60, -v3
	s_waitcnt vmcnt(4)
	v_mul_f32_e32 v3, v12, v57
	v_fmac_f32_e32 v6, v8, v62
	v_fmac_f32_e32 v4, v10, v60
	v_fma_f32 v9, v13, v56, -v3
	s_waitcnt vmcnt(2)
	v_mul_f32_e32 v3, v14, v55
	v_mul_f32_e32 v8, v13, v57
	ds_write2_b64 v46, v[6:7], v[4:5] offset0:144 offset1:216
	v_mul_f32_e32 v4, v15, v55
	v_fma_f32 v5, v15, v54, -v3
	s_waitcnt vmcnt(0)
	v_mul_f32_e32 v6, v17, v53
	v_mul_f32_e32 v3, v16, v53
	v_fmac_f32_e32 v8, v12, v56
	v_fmac_f32_e32 v4, v14, v54
	;; [unrolled: 1-line block ×3, first 2 shown]
	v_fma_f32 v7, v17, v52, -v3
	ds_write2_b64 v2, v[8:9], v[4:5] offset0:32 offset1:104
	ds_write_b64 v46, v[6:7] offset:3456
	s_and_saveexec_b64 s[16:17], vcc
	s_cbranch_execz .LBB0_3
; %bb.2:
	v_mov_b32_e32 v3, 0xfffff478
	s_mulk_i32 s5, 0xf478
	v_mad_u64_u32 v[0:1], s[18:19], s4, v3, v[0:1]
	s_sub_i32 s4, s5, s4
	v_add_u32_e32 v1, s4, v1
	global_load_dwordx2 v[4:5], v[0:1], off
	global_load_dwordx2 v[6:7], v[48:49], off offset:504
	v_lshl_add_u64 v[0:1], v[0:1], 0, s[2:3]
	global_load_dwordx2 v[8:9], v[0:1], off
	global_load_dwordx2 v[10:11], v[48:49], off offset:1080
	v_lshl_add_u64 v[0:1], v[0:1], 0, s[2:3]
	global_load_dwordx2 v[12:13], v[0:1], off
	global_load_dwordx2 v[14:15], v[48:49], off offset:1656
	global_load_dwordx2 v[16:17], v[48:49], off offset:2232
	v_lshl_add_u64 v[0:1], v[0:1], 0, s[2:3]
	global_load_dwordx2 v[18:19], v[0:1], off
	v_lshl_add_u64 v[0:1], v[0:1], 0, s[2:3]
	global_load_dwordx2 v[20:21], v[0:1], off
	global_load_dwordx2 v[22:23], v[48:49], off offset:2808
	v_lshl_add_u64 v[0:1], v[0:1], 0, s[2:3]
	global_load_dwordx2 v[24:25], v[0:1], off
	global_load_dwordx2 v[26:27], v[48:49], off offset:3384
	global_load_dwordx2 v[28:29], v[48:49], off offset:3960
	v_lshl_add_u64 v[0:1], v[0:1], 0, s[2:3]
	global_load_dwordx2 v[0:1], v[0:1], off
	v_add_u32_e32 v3, 0x400, v46
	s_waitcnt vmcnt(12)
	v_mul_f32_e32 v30, v5, v7
	v_mul_f32_e32 v7, v4, v7
	v_fmac_f32_e32 v30, v4, v6
	v_fma_f32 v31, v5, v6, -v7
	s_waitcnt vmcnt(10)
	v_mul_f32_e32 v4, v9, v11
	v_mul_f32_e32 v5, v8, v11
	v_fmac_f32_e32 v4, v8, v10
	v_fma_f32 v5, v9, v10, -v5
	s_waitcnt vmcnt(8)
	v_mul_f32_e32 v6, v13, v15
	v_mul_f32_e32 v7, v12, v15
	ds_write2_b64 v46, v[30:31], v[4:5] offset0:63 offset1:135
	s_waitcnt vmcnt(6)
	v_mul_f32_e32 v4, v19, v17
	v_mul_f32_e32 v5, v18, v17
	v_fmac_f32_e32 v6, v12, v14
	v_fma_f32 v7, v13, v14, -v7
	v_fmac_f32_e32 v4, v18, v16
	v_fma_f32 v5, v19, v16, -v5
	ds_write2_b64 v3, v[6:7], v[4:5] offset0:79 offset1:151
	s_waitcnt vmcnt(2)
	v_mul_f32_e32 v3, v24, v27
	v_mul_f32_e32 v8, v21, v23
	;; [unrolled: 1-line block ×4, first 2 shown]
	v_fma_f32 v5, v25, v26, -v3
	s_waitcnt vmcnt(0)
	v_mul_f32_e32 v6, v1, v29
	v_mul_f32_e32 v3, v0, v29
	v_fmac_f32_e32 v8, v20, v22
	v_fma_f32 v9, v21, v22, -v9
	v_fmac_f32_e32 v4, v24, v26
	v_fmac_f32_e32 v6, v0, v28
	v_fma_f32 v7, v1, v28, -v3
	ds_write2_b64 v2, v[8:9], v[4:5] offset0:95 offset1:167
	ds_write_b64 v46, v[6:7] offset:3960
.LBB0_3:
	s_or_b64 exec, exec, s[16:17]
	s_waitcnt lgkmcnt(0)
	; wave barrier
	s_waitcnt lgkmcnt(0)
	ds_read2_b64 v[16:19], v46 offset1:72
	ds_read2_b64 v[12:15], v46 offset0:144 offset1:216
	ds_read2_b64 v[20:23], v2 offset0:32 offset1:104
	ds_read_b64 v[26:27], v46 offset:3456
	v_mov_b64_e32 v[0:1], 0
	v_mov_b32_e32 v2, 0
	v_mov_b32_e32 v3, 0
	;; [unrolled: 1-line block ×6, first 2 shown]
                                        ; implicit-def: $vgpr24
	s_and_saveexec_b64 s[2:3], vcc
	s_cbranch_execz .LBB0_5
; %bb.4:
	v_add_u32_e32 v4, 0x400, v46
	v_add_u32_e32 v8, 0x800, v46
	ds_read2_b64 v[0:3], v46 offset0:63 offset1:135
	ds_read2_b64 v[4:7], v4 offset0:79 offset1:151
	;; [unrolled: 1-line block ×3, first 2 shown]
	ds_read_b64 v[24:25], v46 offset:3960
.LBB0_5:
	s_or_b64 exec, exec, s[2:3]
	s_waitcnt lgkmcnt(0)
	v_pk_add_f32 v[30:31], v[18:19], v[26:27]
	v_pk_add_f32 v[28:29], v[12:13], v[22:23]
	;; [unrolled: 1-line block ×3, first 2 shown]
	v_pk_add_f32 v[18:19], v[18:19], v[26:27] neg_lo:[0,1] neg_hi:[0,1]
	v_pk_add_f32 v[12:13], v[12:13], v[22:23] neg_lo:[0,1] neg_hi:[0,1]
	v_pk_add_f32 v[14:15], v[20:21], v[14:15] neg_lo:[0,1] neg_hi:[0,1]
	v_mov_b32_e32 v20, v29
	v_mov_b32_e32 v21, v32
	;; [unrolled: 1-line block ×4, first 2 shown]
	v_pk_add_f32 v[36:37], v[20:21], v[22:23] neg_lo:[0,1] neg_hi:[0,1]
	v_mov_b32_e32 v22, v18
	v_mov_b32_e32 v23, v15
	;; [unrolled: 1-line block ×4, first 2 shown]
	v_pk_add_f32 v[20:21], v[14:15], v[12:13]
	v_pk_add_f32 v[22:23], v[22:23], v[26:27] neg_lo:[0,1] neg_hi:[0,1]
	v_pk_add_f32 v[26:27], v[12:13], v[18:19] neg_lo:[0,1] neg_hi:[0,1]
	s_mov_b32 s18, 0x3eae86e6
	v_pk_add_f32 v[38:39], v[20:21], v[18:19]
	s_mov_b32 s19, 0xbf08b237
	v_mul_f32_e32 v20, 0x3f5ff5aa, v26
	v_mul_f32_e32 v27, 0x3f5ff5aa, v27
	v_mov_b32_e32 v18, v14
	v_mov_b32_e32 v13, v15
	v_xor_b32_e32 v26, 0x80000000, v20
	v_xor_b32_e32 v21, 0x80000000, v27
	v_pk_add_f32 v[12:13], v[18:19], v[12:13] neg_lo:[0,1] neg_hi:[0,1]
	s_mov_b32 s24, s19
	s_mov_b32 s25, s18
	;; [unrolled: 1-line block ×4, first 2 shown]
	v_pk_mul_f32 v[44:45], v[22:23], s[18:19]
	v_pk_fma_f32 v[22:23], v[22:23], s[18:19], v[26:27] neg_lo:[1,0,0] neg_hi:[1,0,0]
	v_pk_fma_f32 v[14:15], v[12:13], s[24:25], v[20:21] neg_lo:[1,0,0] neg_hi:[1,0,0]
	v_pk_add_f32 v[18:19], v[24:25], v[2:3]
	v_pk_add_f32 v[20:21], v[10:11], v[4:5]
	s_mov_b32 s3, 0x3d64c772
	v_pk_fma_f32 v[68:69], v[38:39], s[4:5], v[22:23] op_sel_hi:[1,0,1]
	v_mov_b32_e32 v22, v33
	v_mov_b32_e32 v23, v28
	;; [unrolled: 1-line block ×4, first 2 shown]
	v_pk_add_f32 v[2:3], v[2:3], v[24:25] neg_lo:[0,1] neg_hi:[0,1]
	v_pk_add_f32 v[4:5], v[4:5], v[10:11] neg_lo:[0,1] neg_hi:[0,1]
	v_pk_add_f32 v[10:11], v[6:7], v[8:9]
	v_pk_add_f32 v[6:7], v[8:9], v[6:7] neg_lo:[0,1] neg_hi:[0,1]
	v_pk_add_f32 v[8:9], v[20:21], v[18:19]
	s_mov_b32 s20, 0x3f5ff5aa
	v_pk_add_f32 v[72:73], v[22:23], v[26:27] neg_lo:[0,1] neg_hi:[0,1]
	v_pk_add_f32 v[22:23], v[20:21], v[18:19] neg_lo:[0,1] neg_hi:[0,1]
	;; [unrolled: 1-line block ×4, first 2 shown]
	v_pk_add_f32 v[24:25], v[4:5], v[6:7] op_sel:[1,1] op_sel_hi:[0,0]
	v_pk_add_f32 v[26:27], v[6:7], v[4:5] op_sel:[1,1] op_sel_hi:[0,0] neg_lo:[0,1] neg_hi:[0,1]
	v_pk_add_f32 v[4:5], v[4:5], v[2:3] op_sel:[1,1] op_sel_hi:[0,0] neg_lo:[0,1] neg_hi:[0,1]
	v_pk_add_f32 v[8:9], v[8:9], v[10:11]
	s_mov_b32 s26, 0x3f4a47b2
	s_mov_b32 s28, s3
	;; [unrolled: 1-line block ×3, first 2 shown]
	v_pk_add_f32 v[34:35], v[28:29], v[30:31]
	s_mov_b32 s16, 0x3f955555
	v_pk_add_f32 v[6:7], v[2:3], v[6:7] op_sel:[1,1] op_sel_hi:[0,0] neg_lo:[0,1] neg_hi:[0,1]
	v_pk_add_f32 v[2:3], v[2:3], v[24:25] op_sel:[1,0] op_sel_hi:[0,1]
	v_pk_add_f32 v[28:29], v[8:9], v[0:1]
	v_pk_mul_f32 v[0:1], v[18:19], s[26:27] op_sel_hi:[1,0]
	v_pk_mul_f32 v[10:11], v[20:21], s[28:29] op_sel_hi:[1,0]
	v_pk_mul_f32 v[18:19], v[26:27], s[30:31] op_sel_hi:[1,0]
	v_pk_mul_f32 v[24:25], v[4:5], s[20:21] op_sel_hi:[1,0]
	v_pk_fma_f32 v[8:9], v[8:9], s[16:17], v[28:29] op_sel_hi:[1,0,1] neg_lo:[1,0,0] neg_hi:[1,0,0]
	v_pk_fma_f32 v[20:21], v[20:21], s[28:29], v[0:1] op_sel_hi:[1,0,1]
	v_pk_fma_f32 v[10:11], v[22:23], s[2:3], v[10:11] op_sel_hi:[1,0,1] neg_lo:[0,0,1] neg_hi:[0,0,1]
	v_pk_fma_f32 v[0:1], v[22:23], s[2:3], v[0:1] op_sel_hi:[1,0,1] neg_lo:[1,0,1] neg_hi:[1,0,1]
	v_pk_fma_f32 v[22:23], v[6:7], s[18:19], v[18:19] op_sel_hi:[1,0,1]
	v_pk_fma_f32 v[4:5], v[4:5], s[20:21], v[18:19] op_sel_hi:[1,0,1] neg_lo:[0,0,1] neg_hi:[0,0,1]
	v_pk_fma_f32 v[6:7], v[6:7], s[18:19], v[24:25] op_sel_hi:[1,0,1] neg_lo:[1,0,1] neg_hi:[1,0,1]
	v_pk_add_f32 v[76:77], v[20:21], v[8:9]
	v_pk_add_f32 v[10:11], v[10:11], v[8:9]
	;; [unrolled: 1-line block ×3, first 2 shown]
	v_pk_fma_f32 v[8:9], v[2:3], s[4:5], v[22:23] op_sel_hi:[1,0,1]
	v_pk_fma_f32 v[4:5], v[2:3], s[4:5], v[4:5] op_sel_hi:[1,0,1]
	;; [unrolled: 1-line block ×3, first 2 shown]
	v_pk_add_f32 v[24:25], v[10:11], v[4:5]
	v_pk_add_f32 v[6:7], v[0:1], v[2:3]
	v_pk_add_f32 v[26:27], v[0:1], v[2:3] neg_lo:[0,1] neg_hi:[0,1]
	v_pk_add_f32 v[0:1], v[10:11], v[4:5] neg_lo:[0,1] neg_hi:[0,1]
	v_mov_b32_e32 v23, v25
	v_mov_b32_e32 v22, v0
	;; [unrolled: 1-line block ×3, first 2 shown]
	v_pk_add_f32 v[0:1], v[76:77], v[8:9]
	v_pk_add_f32 v[70:71], v[76:77], v[8:9] neg_lo:[0,1] neg_hi:[0,1]
	v_mul_lo_u16_e32 v0, 7, v50
	v_lshl_add_u64 v[42:43], v[50:51], 0, 63
	v_mov_b32_e32 v71, v1
	v_lshlrev_b32_e32 v51, 3, v0
	v_pk_add_f32 v[0:1], v[30:31], v[32:33] neg_lo:[0,1] neg_hi:[0,1]
	s_mov_b32 s22, s3
	s_mov_b32 s23, s2
	v_pk_mul_f32 v[2:3], v[0:1], s[26:27] op_sel_hi:[1,0]
	v_pk_add_f32 v[34:35], v[32:33], v[34:35]
	v_pk_mul_f32 v[40:41], v[36:37], s[2:3]
	v_pk_mul_f32 v[74:75], v[72:73], s[22:23]
	v_mov_b32_e32 v20, v6
	v_xor_b32_e32 v6, 0x80000000, v2
	v_pk_add_f32 v[16:17], v[16:17], v[34:35]
	v_xor_b32_e32 v2, 0x80000000, v3
	v_mov_b32_e32 v4, v41
	v_mov_b32_e32 v5, v74
	;; [unrolled: 1-line block ×4, first 2 shown]
	v_pk_fma_f32 v[34:35], v[34:35], s[16:17], v[16:17] op_sel_hi:[1,0,1] neg_lo:[1,0,0] neg_hi:[1,0,0]
	v_mov_b32_e32 v21, v27
	v_mov_b32_e32 v27, v7
	v_pk_fma_f32 v[0:1], v[0:1], s[26:27], v[4:5] op_sel_hi:[1,0,1]
	v_pk_fma_f32 v[4:5], v[72:73], s[22:23], v[40:41] neg_lo:[1,0,0] neg_hi:[1,0,0]
	v_pk_fma_f32 v[2:3], v[36:37], s[2:3], v[2:3] neg_lo:[1,0,0] neg_hi:[1,0,0]
	v_pk_fma_f32 v[6:7], v[12:13], s[24:25], v[44:45]
	v_pk_fma_f32 v[14:15], v[38:39], s[4:5], v[14:15] op_sel_hi:[1,0,1]
	v_pk_add_f32 v[10:11], v[0:1], v[34:35]
	v_pk_add_f32 v[4:5], v[4:5], v[34:35] op_sel:[0,1] op_sel_hi:[1,0]
	v_pk_add_f32 v[2:3], v[2:3], v[34:35] op_sel:[0,1] op_sel_hi:[1,0]
	v_pk_fma_f32 v[6:7], v[38:39], s[4:5], v[6:7] op_sel_hi:[1,0,1]
	v_pk_add_f32 v[38:39], v[2:3], v[68:69] neg_lo:[0,1] neg_hi:[0,1]
	v_pk_add_f32 v[34:35], v[14:15], v[4:5]
	v_pk_add_f32 v[36:37], v[4:5], v[14:15] neg_lo:[0,1] neg_hi:[0,1]
	v_pk_add_f32 v[32:33], v[68:69], v[2:3]
	v_mov_b32_e32 v2, v76
	v_mov_b32_e32 v3, v6
	;; [unrolled: 1-line block ×4, first 2 shown]
	v_pk_add_f32 v[18:19], v[10:11], v[6:7] op_sel:[0,1] op_sel_hi:[1,0]
	v_pk_add_f32 v[0:1], v[10:11], v[6:7] op_sel:[0,1] op_sel_hi:[1,0] neg_lo:[0,1] neg_hi:[0,1]
	v_pk_add_f32 v[30:31], v[2:3], v[4:5]
	v_mov_b32_e32 v2, v77
	v_mov_b32_e32 v3, v10
	;; [unrolled: 1-line block ×3, first 2 shown]
	v_pk_add_f32 v[40:41], v[2:3], v[6:7] neg_lo:[0,1] neg_hi:[0,1]
	v_mov_b32_e32 v2, v35
	v_mov_b32_e32 v3, v38
	;; [unrolled: 1-line block ×4, first 2 shown]
	s_waitcnt lgkmcnt(0)
	; wave barrier
	ds_write2_b64 v51, v[2:3], v[4:5] offset0:2 offset1:3
	v_mov_b32_e32 v2, v33
	v_mov_b32_e32 v3, v36
	;; [unrolled: 1-line block ×5, first 2 shown]
	ds_write2_b64 v51, v[2:3], v[4:5] offset0:4 offset1:5
	v_mov_b32_e32 v2, v41
	v_mov_b32_e32 v3, v31
	v_mul_u32_u24_e32 v59, 7, v42
	ds_write2_b64 v51, v[16:17], v[18:19] offset1:1
	ds_write_b64 v51, v[2:3] offset:48
	s_and_saveexec_b64 s[2:3], vcc
	s_cbranch_execz .LBB0_7
; %bb.6:
	v_lshlrev_b32_e32 v0, 3, v59
	v_mov_b32_e32 v2, v30
	v_mov_b32_e32 v3, v40
	ds_write2_b64 v0, v[28:29], v[2:3] offset1:1
	ds_write2_b64 v0, v[20:21], v[22:23] offset0:2 offset1:3
	ds_write2_b64 v0, v[24:25], v[26:27] offset0:4 offset1:5
	ds_write_b64 v0, v[70:71] offset:48
.LBB0_7:
	s_or_b64 exec, exec, s[2:3]
	s_load_dwordx2 s[0:1], s[0:1], 0x8
	v_cmp_gt_u16_e64 s[2:3], 56, v50
	v_cmp_lt_u16_e64 s[4:5], 55, v50
	s_waitcnt lgkmcnt(0)
	; wave barrier
	s_waitcnt lgkmcnt(0)
                                        ; implicit-def: $vgpr42
	s_and_saveexec_b64 s[16:17], s[4:5]
	s_xor_b64 s[16:17], exec, s[16:17]
; %bb.8:
	v_mov_b32_e32 v42, v1
; %bb.9:
	s_andn2_saveexec_b64 s[16:17], s[16:17]
	s_cbranch_execz .LBB0_11
; %bb.10:
	v_add_u32_e32 v4, 0x400, v46
	v_add_u32_e32 v0, 0x800, v46
	ds_read_b64 v[12:13], v46 offset:3584
	ds_read2_b64 v[0:3], v0 offset0:80 offset1:136
	ds_read2_b64 v[4:7], v4 offset0:96 offset1:152
	ds_read2_b64 v[16:19], v46 offset1:56
	ds_read2_b64 v[8:11], v46 offset0:112 offset1:168
	s_waitcnt lgkmcnt(0)
	v_mov_b32_e32 v30, v12
	v_mov_b32_e32 v31, v1
	;; [unrolled: 1-line block ×13, first 2 shown]
	v_mov_b64_e32 v[28:29], v[2:3]
.LBB0_11:
	s_or_b64 exec, exec, s[16:17]
	v_mov_b32_e32 v0, 37
	v_mul_lo_u16_sdwa v0, v50, v0 dst_sel:DWORD dst_unused:UNUSED_PAD src0_sel:BYTE_0 src1_sel:DWORD
	v_sub_u16_sdwa v1, v50, v0 dst_sel:DWORD dst_unused:UNUSED_PAD src0_sel:DWORD src1_sel:BYTE_1
	v_lshrrev_b16_e32 v1, 1, v1
	v_and_b32_e32 v1, 0x7f, v1
	v_add_u16_sdwa v0, v1, v0 dst_sel:DWORD dst_unused:UNUSED_PAD src0_sel:DWORD src1_sel:BYTE_1
	v_lshrrev_b16_e32 v86, 2, v0
	v_mul_lo_u16_e32 v0, 7, v86
	v_sub_u16_e32 v0, v50, v0
	v_and_b32_e32 v47, 0xff, v0
	v_lshlrev_b32_e32 v19, 6, v47
	s_waitcnt lgkmcnt(0)
	global_load_dwordx4 v[8:11], v19, s[0:1]
	global_load_dwordx4 v[0:3], v19, s[0:1] offset:16
	global_load_dwordx4 v[4:7], v19, s[0:1] offset:32
	;; [unrolled: 1-line block ×3, first 2 shown]
	s_mov_b32 s24, 0x3f248dbb
	s_mov_b32 s25, 0x3f7c1c5c
	;; [unrolled: 1-line block ×9, first 2 shown]
	v_mul_u32_u24_e32 v96, 63, v86
	s_waitcnt lgkmcnt(0)
	; wave barrier
	s_waitcnt vmcnt(3)
	v_pk_mul_f32 v[42:43], v[42:43], v[8:9] op_sel_hi:[0,1]
	v_pk_mul_f32 v[44:45], v[38:39], v[10:11] op_sel_hi:[0,1]
	s_waitcnt vmcnt(2)
	v_pk_mul_f32 v[68:69], v[34:35], v[0:1] op_sel_hi:[0,1]
	v_pk_mul_f32 v[72:73], v[36:37], v[2:3] op_sel_hi:[0,1]
	s_waitcnt vmcnt(1)
	v_pk_mul_f32 v[74:75], v[32:33], v[4:5] op_sel_hi:[0,1]
	v_pk_mul_f32 v[76:77], v[30:31], v[6:7] op_sel:[1,0]
	s_waitcnt vmcnt(0)
	v_pk_mul_f32 v[78:79], v[28:29], v[12:13] op_sel:[1,0]
	v_pk_mul_f32 v[80:81], v[40:41], v[14:15] op_sel_hi:[0,1]
	v_pk_fma_f32 v[82:83], v[18:19], v[8:9], v[42:43] op_sel:[0,0,1] op_sel_hi:[1,1,0] neg_lo:[0,0,1] neg_hi:[0,0,1]
	v_pk_fma_f32 v[18:19], v[18:19], v[8:9], v[42:43] op_sel:[0,0,1] op_sel_hi:[0,1,0]
	v_pk_fma_f32 v[84:85], v[34:35], v[10:11], v[44:45] op_sel:[1,0,1] op_sel_hi:[1,1,0] neg_lo:[0,0,1] neg_hi:[0,0,1]
	v_pk_fma_f32 v[34:35], v[34:35], v[10:11], v[44:45] op_sel:[1,0,1] op_sel_hi:[1,1,0]
	;; [unrolled: 2-line block ×8, first 2 shown]
	v_mov_b32_e32 v83, v19
	v_mov_b32_e32 v85, v35
	;; [unrolled: 1-line block ×15, first 2 shown]
	v_pk_add_f32 v[18:19], v[82:83], v[76:77]
	v_pk_add_f32 v[32:33], v[32:33], v[30:31] neg_lo:[0,1] neg_hi:[0,1]
	v_pk_add_f32 v[40:41], v[34:35], v[40:41] neg_lo:[0,1] neg_hi:[0,1]
	v_pk_add_f32 v[30:31], v[44:45], v[72:73] neg_lo:[0,1] neg_hi:[0,1]
	v_mov_b32_e32 v43, v37
	v_pk_add_f32 v[28:29], v[84:85], v[74:75]
	v_pk_add_f32 v[36:37], v[44:45], v[72:73]
	v_pk_mul_f32 v[68:69], v[30:31], s[16:17] op_sel_hi:[1,0]
	v_pk_mul_f32 v[30:31], v[40:41], s[28:29]
	v_pk_fma_f32 v[72:73], v[18:19], s[20:21], v[16:17] op_sel_hi:[1,0,1]
	v_pk_fma_f32 v[30:31], v[32:33], s[24:25], v[30:31]
	v_pk_fma_f32 v[72:73], v[28:29], s[22:23], v[72:73] op_sel_hi:[1,0,1]
	v_pk_add_f32 v[44:45], v[38:39], v[42:43] neg_lo:[0,1] neg_hi:[0,1]
	v_pk_add_f32 v[34:35], v[38:39], v[42:43]
	v_pk_add_f32 v[30:31], v[68:69], v[30:31] op_sel:[1,0] op_sel_hi:[0,1]
	v_pk_fma_f32 v[72:73], v[36:37], 0.5, v[72:73] op_sel_hi:[1,0,1] neg_lo:[1,0,0] neg_hi:[1,0,0]
	v_pk_fma_f32 v[30:31], v[44:45], s[18:19], v[30:31] op_sel:[1,0,0] op_sel_hi:[0,0,1]
	v_pk_fma_f32 v[72:73], v[34:35], s[26:27], v[72:73] op_sel_hi:[1,0,1]
	v_add_f32_e32 v79, v31, v31
	v_pk_add_f32 v[74:75], v[72:73], v[30:31]
	v_pk_add_f32 v[76:77], v[72:73], v[30:31] neg_lo:[0,1] neg_hi:[0,1]
	v_add_f32_e32 v30, v30, v30
	v_mov_b32_e32 v78, v74
	v_mov_b32_e32 v31, v77
	;; [unrolled: 1-line block ×3, first 2 shown]
	v_pk_add_f32 v[30:31], v[74:75], v[30:31] neg_lo:[0,1] neg_hi:[0,1]
	v_pk_add_f32 v[74:75], v[78:79], v[76:77]
	v_mov_b32_e32 v73, v77
	v_mov_b32_e32 v31, v75
	s_and_saveexec_b64 s[26:27], s[2:3]
	s_cbranch_execz .LBB0_13
; %bb.12:
	v_pk_add_f32 v[76:77], v[28:29], v[18:19]
	v_mov_b32_e32 v74, v69
	v_pk_add_f32 v[78:79], v[36:37], v[76:77]
	v_mov_b32_e32 v75, v68
	;; [unrolled: 2-line block ×4, first 2 shown]
	v_add_lshl_u32 v80, v96, v47, 3
	v_pk_add_f32 v[38:39], v[16:17], v[38:39]
	s_mov_b32 s28, 0xbf248dbb
	ds_write2_b64 v80, v[38:39], v[72:73] offset1:7
	v_mov_b32_e32 v38, v40
	v_mov_b32_e32 v39, v33
	;; [unrolled: 1-line block ×3, first 2 shown]
	s_mov_b32 s24, s25
	v_pk_mul_f32 v[40:41], v[68:69], s[28:29] op_sel_hi:[1,0]
	v_pk_fma_f32 v[42:43], v[34:35], s[20:21], v[16:17] op_sel_hi:[1,0,1]
	v_pk_mul_f32 v[44:45], v[36:37], 0.5 op_sel_hi:[1,0]
	v_pk_fma_f32 v[40:41], v[32:33], s[24:25], v[40:41] op_sel_hi:[1,0,1]
	v_pk_fma_f32 v[42:43], v[18:19], s[22:23], v[42:43] op_sel_hi:[1,0,1]
	v_pk_add_f32 v[40:41], v[40:41], v[74:75] neg_lo:[0,1] neg_hi:[0,1]
	v_pk_add_f32 v[42:43], v[42:43], v[44:45] neg_lo:[0,1] neg_hi:[0,1]
	s_mov_b32 s30, 0x3f708fb2
	v_pk_fma_f32 v[40:41], v[38:39], s[18:19], v[40:41] op_sel_hi:[1,0,1]
	v_pk_fma_f32 v[42:43], v[28:29], s[30:31], v[42:43] op_sel_hi:[1,0,1] neg_lo:[1,0,0] neg_hi:[1,0,0]
	v_pk_add_f32 v[36:37], v[16:17], v[36:37]
	v_pk_add_f32 v[72:73], v[42:43], v[40:41]
	v_pk_add_f32 v[42:43], v[42:43], v[40:41] neg_lo:[0,1] neg_hi:[0,1]
	v_mov_b32_e32 v78, v72
	v_fma_f32 v79, 2.0, v41, v43
	v_fmac_f32_e32 v78, -2.0, v40
	v_pk_add_f32 v[40:41], v[68:69], v[32:33]
	v_pk_add_f32 v[76:77], v[34:35], v[76:77]
	v_pk_add_f32 v[40:41], v[40:41], v[38:39] neg_lo:[0,1] neg_hi:[0,1]
	v_pk_fma_f32 v[36:37], -0.5, v[76:77], v[36:37] op_sel_hi:[0,1,1]
	v_mov_b32_e32 v73, v43
	v_pk_mul_f32 v[42:43], v[40:41], s[16:17] op_sel_hi:[1,0]
	v_pk_fma_f32 v[76:77], v[40:41], s[16:17], v[36:37] op_sel_hi:[1,0,1]
	v_pk_fma_f32 v[36:37], v[40:41], s[16:17], v[36:37] op_sel_hi:[1,0,1] neg_lo:[1,0,0] neg_hi:[1,0,0]
	v_pk_fma_f32 v[16:17], v[28:29], s[20:21], v[16:17] op_sel_hi:[1,0,1]
	v_fma_f32 v41, 2.0, v43, v37
	v_mov_b32_e32 v77, v37
	v_pk_mul_f32 v[36:37], v[68:69], s[24:25] op_sel_hi:[1,0]
	v_pk_fma_f32 v[16:17], v[34:35], s[22:23], v[16:17] op_sel_hi:[1,0,1]
	v_pk_fma_f32 v[36:37], v[38:39], s[28:29], v[36:37] op_sel_hi:[1,0,1] neg_lo:[0,0,1] neg_hi:[0,0,1]
	v_pk_add_f32 v[16:17], v[16:17], v[44:45] neg_lo:[0,1] neg_hi:[0,1]
	v_pk_add_f32 v[36:37], v[74:75], v[36:37]
	v_pk_fma_f32 v[16:17], v[18:19], s[30:31], v[16:17] op_sel_hi:[1,0,1] neg_lo:[1,0,0] neg_hi:[1,0,0]
	v_pk_fma_f32 v[32:33], v[32:33], s[18:19], v[36:37] op_sel_hi:[1,0,1]
	v_mov_b32_e32 v40, v76
	v_pk_add_f32 v[18:19], v[16:17], v[32:33]
	v_pk_add_f32 v[16:17], v[16:17], v[32:33] neg_lo:[0,1] neg_hi:[0,1]
	v_mov_b32_e32 v28, v18
	v_fma_f32 v29, 2.0, v33, v17
	v_mov_b32_e32 v19, v17
	v_fmac_f32_e32 v28, -2.0, v32
	v_fmac_f32_e32 v40, -2.0, v42
	ds_write2_b64 v80, v[72:73], v[76:77] offset0:14 offset1:21
	ds_write2_b64 v80, v[18:19], v[28:29] offset0:28 offset1:35
	;; [unrolled: 1-line block ×3, first 2 shown]
	ds_write_b64 v80, v[30:31] offset:448
.LBB0_13:
	s_or_b64 exec, exec, s[26:27]
	v_mad_u64_u32 v[28:29], s[0:1], v50, 24, s[0:1]
	s_waitcnt lgkmcnt(0)
	; wave barrier
	s_waitcnt lgkmcnt(0)
	global_load_dwordx4 v[16:19], v[28:29], off offset:448
	global_load_dwordx2 v[68:69], v[28:29], off offset:464
	v_add_u32_e32 v34, 0x400, v46
	ds_read2_b64 v[36:39], v46 offset1:63
	ds_read2_b64 v[72:75], v46 offset0:126 offset1:189
	v_add_u32_e32 v42, 0x800, v46
	ds_read2_b64 v[76:79], v34 offset0:124 offset1:187
	ds_read2_b64 v[80:83], v42 offset0:122 offset1:185
	v_lshlrev_b32_e32 v32, 4, v50
	v_sub_co_u32_e64 v28, s[0:1], v28, v32
	s_waitcnt lgkmcnt(0)
	s_nop 0
	v_subbrev_co_u32_e64 v29, s[0:1], 0, v29, s[0:1]
	; wave barrier
	s_add_u32 s0, s14, 0xfc0
	s_addc_u32 s1, s15, 0
	s_waitcnt vmcnt(1)
	v_mov_b32_e32 v32, v19
	v_pk_mul_f32 v[40:41], v[72:73], v[16:17] op_sel_hi:[1,0]
	s_waitcnt vmcnt(0)
	v_pk_mul_f32 v[44:45], v[80:81], v[68:69] op_sel_hi:[1,0]
	v_pk_mul_f32 v[84:85], v[74:75], v[16:17] op_sel_hi:[1,0]
	;; [unrolled: 1-line block ×4, first 2 shown]
	v_pk_fma_f32 v[90:91], v[72:73], v[16:17], v[40:41] op_sel:[0,1,1] op_sel_hi:[1,1,0]
	v_pk_fma_f32 v[40:41], v[72:73], v[16:17], v[40:41] op_sel:[0,1,1] op_sel_hi:[1,1,0] neg_lo:[1,0,0] neg_hi:[1,0,0]
	v_pk_fma_f32 v[72:73], v[80:81], v[68:69], v[44:45] op_sel:[0,1,1] op_sel_hi:[1,1,0]
	v_pk_fma_f32 v[44:45], v[80:81], v[68:69], v[44:45] op_sel:[0,1,1] op_sel_hi:[1,1,0] neg_lo:[1,0,0] neg_hi:[1,0,0]
	;; [unrolled: 2-line block ×3, first 2 shown]
	v_pk_mul_f32 v[32:33], v[78:79], v[32:33] op_sel_hi:[1,0]
	v_pk_fma_f32 v[84:85], v[82:83], v[68:69], v[86:87] op_sel:[0,1,1] op_sel_hi:[1,1,0]
	v_pk_fma_f32 v[82:83], v[82:83], v[68:69], v[86:87] op_sel:[0,1,1] op_sel_hi:[1,1,0] neg_lo:[1,0,0] neg_hi:[1,0,0]
	v_pk_fma_f32 v[86:87], v[76:77], v[18:19], v[88:89] op_sel:[0,0,1] op_sel_hi:[1,1,0] neg_lo:[0,0,1] neg_hi:[0,0,1]
	v_pk_fma_f32 v[76:77], v[76:77], v[18:19], v[88:89] op_sel:[0,0,1] op_sel_hi:[1,0,0]
	v_mov_b32_e32 v91, v41
	v_mov_b32_e32 v73, v45
	v_pk_fma_f32 v[40:41], v[78:79], v[18:19], v[32:33] op_sel:[0,0,1] op_sel_hi:[1,1,0] neg_lo:[0,0,1] neg_hi:[0,0,1]
	v_pk_fma_f32 v[32:33], v[78:79], v[18:19], v[32:33] op_sel:[0,0,1] op_sel_hi:[1,0,0]
	v_mov_b32_e32 v87, v77
	v_mov_b32_e32 v81, v75
	;; [unrolled: 1-line block ×3, first 2 shown]
	v_pk_add_f32 v[44:45], v[90:91], v[72:73] neg_lo:[0,1] neg_hi:[0,1]
	v_mov_b32_e32 v41, v33
	v_pk_add_f32 v[72:73], v[36:37], v[86:87] neg_lo:[0,1] neg_hi:[0,1]
	v_pk_add_f32 v[32:33], v[80:81], v[84:85] neg_lo:[0,1] neg_hi:[0,1]
	v_pk_fma_f32 v[74:75], v[90:91], 2.0, v[44:45] op_sel_hi:[1,0,1] neg_lo:[0,0,1] neg_hi:[0,0,1]
	v_pk_add_f32 v[40:41], v[38:39], v[40:41] neg_lo:[0,1] neg_hi:[0,1]
	v_pk_add_f32 v[78:79], v[72:73], v[44:45] neg_lo:[0,1] neg_hi:[0,1]
	v_pk_add_f32 v[44:45], v[72:73], v[44:45]
	v_pk_fma_f32 v[36:37], v[36:37], 2.0, v[72:73] op_sel_hi:[1,0,1] neg_lo:[0,0,1] neg_hi:[0,0,1]
	v_pk_fma_f32 v[76:77], v[80:81], 2.0, v[32:33] op_sel_hi:[1,0,1] neg_lo:[0,0,1] neg_hi:[0,0,1]
	v_pk_add_f32 v[80:81], v[40:41], v[32:33] neg_lo:[0,1] neg_hi:[0,1]
	v_pk_add_f32 v[32:33], v[40:41], v[32:33]
	v_pk_fma_f32 v[38:39], v[38:39], 2.0, v[40:41] op_sel_hi:[1,0,1] neg_lo:[0,0,1] neg_hi:[0,0,1]
	v_mov_b32_e32 v79, v45
	v_pk_add_f32 v[44:45], v[36:37], v[74:75] op_sel:[0,1] op_sel_hi:[1,0] neg_lo:[0,1] neg_hi:[0,1]
	v_mov_b32_e32 v81, v33
	v_pk_add_f32 v[32:33], v[38:39], v[76:77] op_sel:[0,1] op_sel_hi:[1,0] neg_lo:[0,1] neg_hi:[0,1]
	v_pk_fma_f32 v[72:73], v[72:73], 2.0, v[78:79] op_sel_hi:[1,0,1] neg_lo:[0,0,1] neg_hi:[0,0,1]
	v_pk_fma_f32 v[36:37], v[36:37], 2.0, v[44:45] op_sel_hi:[1,0,1] neg_lo:[0,0,1] neg_hi:[0,0,1]
	;; [unrolled: 1-line block ×4, first 2 shown]
	ds_write2_b64 v46, v[36:37], v[72:73] offset1:63
	ds_write2_b64 v46, v[44:45], v[78:79] offset0:126 offset1:189
	ds_write2_b64 v34, v[38:39], v[40:41] offset0:124 offset1:187
	;; [unrolled: 1-line block ×3, first 2 shown]
	s_waitcnt lgkmcnt(0)
	; wave barrier
	s_waitcnt lgkmcnt(0)
	global_load_dwordx2 v[72:73], v[28:29], off offset:3472
	global_load_dwordx2 v[76:77], v[28:29], off offset:2464
	;; [unrolled: 1-line block ×4, first 2 shown]
	ds_read2_b64 v[36:39], v42 offset0:122 offset1:185
	ds_read2_b64 v[80:83], v34 offset0:124 offset1:187
	ds_read2_b64 v[84:87], v46 offset0:126 offset1:189
	ds_read2_b64 v[88:91], v46 offset1:63
	v_lshlrev_b32_e32 v32, 3, v50
	s_waitcnt vmcnt(3) lgkmcnt(3)
	v_pk_mul_f32 v[28:29], v[38:39], v[72:73] op_sel:[0,1]
	s_waitcnt vmcnt(2) lgkmcnt(2)
	v_pk_mul_f32 v[40:41], v[82:83], v[76:77] op_sel:[0,1]
	s_waitcnt vmcnt(1)
	v_pk_mul_f32 v[44:45], v[36:37], v[74:75] op_sel:[0,1]
	s_waitcnt vmcnt(0)
	v_pk_mul_f32 v[92:93], v[80:81], v[78:79] op_sel:[0,1]
	v_pk_fma_f32 v[94:95], v[38:39], v[72:73], v[28:29] op_sel:[0,0,1] op_sel_hi:[1,1,0] neg_lo:[0,0,1] neg_hi:[0,0,1]
	v_pk_fma_f32 v[28:29], v[38:39], v[72:73], v[28:29] op_sel:[0,0,1] op_sel_hi:[1,0,0]
	v_pk_fma_f32 v[38:39], v[82:83], v[76:77], v[40:41] op_sel:[0,0,1] op_sel_hi:[1,1,0] neg_lo:[0,0,1] neg_hi:[0,0,1]
	v_pk_fma_f32 v[40:41], v[82:83], v[76:77], v[40:41] op_sel:[0,0,1] op_sel_hi:[1,0,0]
	;; [unrolled: 2-line block ×4, first 2 shown]
	v_mov_b32_e32 v95, v29
	v_mov_b32_e32 v39, v41
	;; [unrolled: 1-line block ×4, first 2 shown]
	s_waitcnt lgkmcnt(1)
	v_pk_add_f32 v[28:29], v[86:87], v[94:95] neg_lo:[0,1] neg_hi:[0,1]
	s_waitcnt lgkmcnt(0)
	v_pk_add_f32 v[36:37], v[90:91], v[38:39] neg_lo:[0,1] neg_hi:[0,1]
	v_pk_add_f32 v[40:41], v[88:89], v[44:45] neg_lo:[0,1] neg_hi:[0,1]
	;; [unrolled: 1-line block ×3, first 2 shown]
	v_pk_fma_f32 v[44:45], v[90:91], 2.0, v[36:37] op_sel_hi:[1,0,1] neg_lo:[0,0,1] neg_hi:[0,0,1]
	ds_write2_b64 v34, v[40:41], v[36:37] offset0:124 offset1:187
	v_pk_fma_f32 v[36:37], v[88:89], 2.0, v[40:41] op_sel_hi:[1,0,1] neg_lo:[0,0,1] neg_hi:[0,0,1]
	v_pk_fma_f32 v[40:41], v[86:87], 2.0, v[28:29] op_sel_hi:[1,0,1] neg_lo:[0,0,1] neg_hi:[0,0,1]
	;; [unrolled: 1-line block ×3, first 2 shown]
	ds_write2_b64 v46, v[36:37], v[44:45] offset1:63
	ds_write2_b64 v46, v[80:81], v[40:41] offset0:126 offset1:189
	ds_write2_b64 v42, v[38:39], v[28:29] offset0:122 offset1:185
	s_waitcnt lgkmcnt(0)
	; wave barrier
	s_waitcnt lgkmcnt(0)
	global_load_dwordx2 v[40:41], v[48:49], off offset:4032
	global_load_dwordx2 v[44:45], v32, s[0:1] offset:576
	global_load_dwordx2 v[84:85], v32, s[0:1] offset:1152
	;; [unrolled: 1-line block ×6, first 2 shown]
	ds_read2_b64 v[36:39], v46 offset1:72
	s_waitcnt vmcnt(5) lgkmcnt(0)
	v_mul_f32_e32 v35, v39, v45
	v_mul_f32_e32 v33, v37, v41
	;; [unrolled: 1-line block ×4, first 2 shown]
	v_fma_f32 v80, v36, v40, -v33
	v_fmac_f32_e32 v81, v37, v40
	v_fma_f32 v40, v38, v44, -v35
	v_fmac_f32_e32 v41, v39, v44
	ds_write2_b64 v46, v[80:81], v[40:41] offset1:72
	ds_read2_b64 v[36:39], v46 offset0:144 offset1:216
	ds_read2_b64 v[80:83], v42 offset0:32 offset1:104
	ds_read_b64 v[40:41], v46 offset:3456
	v_mov_b32_e32 v33, 0
	s_waitcnt vmcnt(4) lgkmcnt(2)
	v_mul_f32_e32 v35, v37, v85
	v_mul_f32_e32 v45, v36, v85
	s_waitcnt vmcnt(3)
	v_mul_f32_e32 v43, v39, v87
	v_mul_f32_e32 v85, v38, v87
	s_waitcnt vmcnt(2) lgkmcnt(1)
	v_mul_f32_e32 v94, v81, v89
	v_mul_f32_e32 v87, v80, v89
	s_waitcnt vmcnt(1)
	v_mul_f32_e32 v95, v83, v91
	v_mul_f32_e32 v89, v82, v91
	s_waitcnt vmcnt(0) lgkmcnt(0)
	v_mul_f32_e32 v97, v41, v93
	v_mul_f32_e32 v91, v40, v93
	v_fma_f32 v44, v36, v84, -v35
	v_fmac_f32_e32 v45, v37, v84
	v_fma_f32 v84, v38, v86, -v43
	v_fmac_f32_e32 v85, v39, v86
	;; [unrolled: 2-line block ×5, first 2 shown]
	ds_write2_b64 v46, v[44:45], v[84:85] offset0:144 offset1:216
	ds_write2_b64 v42, v[86:87], v[88:89] offset0:32 offset1:104
	ds_write_b64 v46, v[90:91] offset:3456
	s_and_saveexec_b64 s[14:15], vcc
	s_cbranch_execz .LBB0_15
; %bb.14:
	v_lshl_add_u64 v[32:33], s[0:1], 0, v[32:33]
	global_load_dwordx2 v[40:41], v[32:33], off offset:504
	global_load_dwordx2 v[44:45], v[32:33], off offset:1080
	;; [unrolled: 1-line block ×7, first 2 shown]
	ds_read2_b64 v[36:39], v46 offset0:63 offset1:135
	ds_read2_b64 v[80:83], v34 offset0:79 offset1:151
	;; [unrolled: 1-line block ×3, first 2 shown]
	ds_read_b64 v[32:33], v46 offset:3960
	s_waitcnt vmcnt(6) lgkmcnt(3)
	v_mul_f32_e32 v35, v37, v41
	v_mul_f32_e32 v101, v36, v41
	s_waitcnt vmcnt(5)
	v_mul_f32_e32 v43, v39, v45
	v_mul_f32_e32 v41, v38, v45
	s_waitcnt vmcnt(4) lgkmcnt(2)
	v_mul_f32_e32 v97, v81, v89
	v_mul_f32_e32 v45, v80, v89
	s_waitcnt vmcnt(3)
	v_mul_f32_e32 v102, v83, v91
	v_mul_f32_e32 v89, v82, v91
	s_waitcnt vmcnt(2) lgkmcnt(1)
	v_mul_f32_e32 v103, v85, v93
	v_mul_f32_e32 v91, v84, v93
	s_waitcnt vmcnt(1)
	v_mul_f32_e32 v104, v87, v95
	v_mul_f32_e32 v93, v86, v95
	s_waitcnt vmcnt(0) lgkmcnt(0)
	v_mul_f32_e32 v105, v33, v99
	v_mul_f32_e32 v95, v32, v99
	v_fma_f32 v100, v36, v40, -v35
	v_fmac_f32_e32 v101, v37, v40
	v_fma_f32 v40, v38, v44, -v43
	v_fmac_f32_e32 v41, v39, v44
	;; [unrolled: 2-line block ×7, first 2 shown]
	ds_write2_b64 v46, v[100:101], v[40:41] offset0:63 offset1:135
	ds_write2_b64 v34, v[44:45], v[88:89] offset0:79 offset1:151
	;; [unrolled: 1-line block ×3, first 2 shown]
	ds_write_b64 v46, v[94:95] offset:3960
.LBB0_15:
	s_or_b64 exec, exec, s[14:15]
	s_waitcnt lgkmcnt(0)
	; wave barrier
	s_waitcnt lgkmcnt(0)
	ds_read2_b64 v[38:41], v46 offset1:72
	ds_read2_b64 v[34:37], v46 offset0:144 offset1:216
	ds_read2_b64 v[42:45], v42 offset0:32 offset1:104
	ds_read_b64 v[80:81], v46 offset:3456
	s_and_saveexec_b64 s[0:1], vcc
	s_cbranch_execz .LBB0_17
; %bb.16:
	v_add_u32_e32 v20, 0x400, v46
	v_add_u32_e32 v24, 0x800, v46
	ds_read2_b64 v[28:31], v46 offset0:63 offset1:135
	ds_read2_b64 v[20:23], v20 offset0:79 offset1:151
	;; [unrolled: 1-line block ×3, first 2 shown]
	ds_read_b64 v[70:71], v46 offset:3960
.LBB0_17:
	s_or_b64 exec, exec, s[0:1]
	s_waitcnt lgkmcnt(0)
	v_pk_add_f32 v[82:83], v[40:41], v[80:81]
	v_pk_add_f32 v[84:85], v[34:35], v[44:45]
	;; [unrolled: 1-line block ×3, first 2 shown]
	v_pk_add_f32 v[34:35], v[34:35], v[44:45] neg_lo:[0,1] neg_hi:[0,1]
	v_pk_add_f32 v[42:43], v[42:43], v[36:37] neg_lo:[0,1] neg_hi:[0,1]
	v_pk_add_f32 v[32:33], v[84:85], v[82:83]
	v_pk_add_f32 v[40:41], v[40:41], v[80:81] neg_lo:[0,1] neg_hi:[0,1]
	v_pk_add_f32 v[36:37], v[84:85], v[82:83] op_sel:[1,1] op_sel_hi:[0,0] neg_lo:[0,1] neg_hi:[0,1]
	v_pk_add_f32 v[44:45], v[86:87], v[84:85] op_sel:[1,1] op_sel_hi:[0,0] neg_lo:[0,1] neg_hi:[0,1]
	v_pk_add_f32 v[84:85], v[42:43], v[34:35] neg_lo:[0,1] neg_hi:[0,1]
	s_mov_b32 s16, 0x3f08b237
	v_pk_add_f32 v[80:81], v[42:43], v[34:35]
	v_pk_add_f32 v[34:35], v[34:35], v[40:41] neg_lo:[0,1] neg_hi:[0,1]
	v_pk_mul_f32 v[98:99], v[84:85], s[16:17] op_sel_hi:[1,0]
	s_mov_b32 s22, 0xbf5ff5aa
	v_pk_add_f32 v[88:89], v[86:87], v[32:33]
	v_pk_add_f32 v[80:81], v[80:81], v[40:41]
	s_mov_b32 s14, 0xbee1c552
	v_pk_mul_f32 v[100:101], v[34:35], s[22:23] op_sel_hi:[1,0]
	v_pk_fma_f32 v[34:35], v[34:35], s[22:23], v[98:99] op_sel_hi:[1,0,1] neg_lo:[0,0,1] neg_hi:[0,0,1]
	v_pk_add_f32 v[32:33], v[38:39], v[88:89]
	v_sub_f32_e32 v38, v41, v43
	s_mov_b32 s0, 0x3d64c772
	s_mov_b32 s20, 0x3f3bfb3b
	v_pk_mul_f32 v[94:95], v[80:81], s[14:15] op_sel_hi:[1,0]
	s_mov_b32 s24, 0x3f4a47b2
	v_pk_fma_f32 v[80:81], v[80:81], s[14:15], v[34:35] op_sel_hi:[1,0,1]
	v_mov_b32_e32 v34, v83
	v_mov_b32_e32 v35, v40
	v_mov_b32_e32 v40, v87
	v_mov_b32_e32 v41, v42
	v_sub_f32_e32 v97, v82, v86
	v_pk_mul_f32 v[90:91], v[44:45], s[0:1] op_sel_hi:[1,0]
	v_pk_mul_f32 v[92:93], v[36:37], s[20:21] op_sel_hi:[1,0]
	s_mov_b32 s25, 0xbeae86e6
	s_mov_b32 s1, 0xbf4a47b2
	v_pk_add_f32 v[34:35], v[34:35], v[40:41] neg_lo:[0,1] neg_hi:[0,1]
	v_fma_f32 v102, v97, s1, -v93
	s_mov_b32 s1, 0x3eae86e6
	v_pk_mul_f32 v[40:41], v[34:35], s[24:25]
	v_mul_f32_e32 v39, 0x3f955555, v89
	v_fmamk_f32 v103, v97, 0x3f4a47b2, v91
	v_pk_fma_f32 v[104:105], v[36:37], s[20:21], v[90:91] op_sel_hi:[1,0,1] neg_lo:[0,0,1] neg_hi:[0,0,1]
	v_fmac_f32_e32 v99, 0xbeae86e6, v38
	v_xor_b32_e32 v91, 0x80000000, v100
	v_fma_f32 v98, v38, s1, -v101
	v_mov_b32_e32 v38, v41
	v_fmamk_f32 v88, v88, 0xbf955555, v32
	v_pk_add_f32 v[98:99], v[94:95], v[98:99] op_sel:[1,0]
	v_pk_fma_f32 v[42:43], v[84:85], s[16:17], v[38:39] op_sel_hi:[1,0,1]
	v_pk_add_f32 v[38:39], v[32:33], v[38:39] neg_lo:[0,1] neg_hi:[0,1]
	v_sub_f32_e64 v95, -v40, v92
	v_pk_fma_f32 v[40:41], v[44:45], s[0:1], v[40:41] op_sel_hi:[1,0,1]
	v_pk_fma_f32 v[34:35], v[34:35], s[24:25], v[90:91] neg_lo:[1,0,0] neg_hi:[1,0,0]
	v_mov_b32_e32 v43, v39
	v_mov_b32_e32 v82, v39
	;; [unrolled: 1-line block ×6, first 2 shown]
	v_pk_add_f32 v[82:83], v[104:105], v[82:83]
	v_pk_add_f32 v[44:45], v[94:95], v[42:43]
	;; [unrolled: 1-line block ×3, first 2 shown]
	v_pk_add_f32 v[100:101], v[102:103], v[88:89] op_sel_hi:[1,0]
	v_mov_b32_e32 v38, v45
	v_mov_b32_e32 v39, v83
	;; [unrolled: 1-line block ×4, first 2 shown]
	v_pk_add_f32 v[42:43], v[38:39], v[40:41] neg_lo:[0,1] neg_hi:[0,1]
	v_pk_add_f32 v[38:39], v[80:81], v[82:83]
	v_mov_b32_e32 v83, v100
	v_mov_b32_e32 v81, v98
	v_pk_add_f32 v[40:41], v[82:83], v[80:81] neg_lo:[0,1] neg_hi:[0,1]
	v_pk_add_f32 v[80:81], v[70:71], v[30:31]
	v_pk_add_f32 v[82:83], v[26:27], v[20:21]
	v_pk_add_f32 v[34:35], v[84:85], v[44:45] neg_lo:[0,1] neg_hi:[0,1]
	v_pk_add_f32 v[44:45], v[84:85], v[44:45]
	v_pk_add_f32 v[88:89], v[22:23], v[24:25]
	;; [unrolled: 1-line block ×3, first 2 shown]
	v_pk_add_f32 v[70:71], v[30:31], v[70:71] neg_lo:[0,1] neg_hi:[0,1]
	v_pk_add_f32 v[94:95], v[88:89], v[84:85]
	v_pk_add_f32 v[84:85], v[20:21], v[26:27] neg_lo:[0,1] neg_hi:[0,1]
	v_pk_add_f32 v[20:21], v[24:25], v[22:23] neg_lo:[0,1] neg_hi:[0,1]
	;; [unrolled: 1-line block ×4, first 2 shown]
	s_mov_b32 s20, s25
	s_mov_b32 s18, 0xbf955555
	v_pk_add_f32 v[28:29], v[28:29], v[94:95]
	v_pk_add_f32 v[24:25], v[20:21], v[84:85]
	v_pk_mul_f32 v[30:31], v[22:23], s[24:25] op_sel_hi:[1,0]
	v_pk_mul_f32 v[26:27], v[26:27], s[20:21] op_sel_hi:[1,0]
	v_pk_add_f32 v[90:91], v[88:89], v[82:83] neg_lo:[0,1] neg_hi:[0,1]
	v_pk_add_f32 v[92:93], v[20:21], v[84:85] neg_lo:[0,1] neg_hi:[0,1]
	v_pk_add_f32 v[86:87], v[24:25], v[70:71]
	v_pk_fma_f32 v[22:23], v[94:95], s[18:19], v[28:29] op_sel_hi:[1,0,1]
	v_pk_fma_f32 v[20:21], v[90:91], s[0:1], v[30:31] op_sel_hi:[1,0,1]
	;; [unrolled: 1-line block ×3, first 2 shown]
	v_pk_add_f32 v[88:89], v[20:21], v[22:23]
	v_pk_fma_f32 v[94:95], v[86:87], s[14:15], v[24:25] op_sel_hi:[1,0,1]
	v_pk_add_f32 v[36:37], v[100:101], v[98:99]
	v_mov_b32_e32 v100, v89
	v_mov_b32_e32 v98, v94
	v_pk_add_f32 v[24:25], v[100:101], v[98:99] neg_lo:[0,1] neg_hi:[0,1]
	v_mov_b32_e32 v98, v37
	v_mov_b32_e32 v99, v34
	s_waitcnt lgkmcnt(0)
	; wave barrier
	ds_write2_b64 v51, v[32:33], v[98:99] offset1:1
	v_mov_b32_e32 v98, v36
	v_mov_b32_e32 v99, v42
	;; [unrolled: 1-line block ×4, first 2 shown]
	ds_write2_b64 v51, v[98:99], v[100:101] offset0:2 offset1:3
	v_mov_b32_e32 v98, v39
	v_mov_b32_e32 v99, v40
	;; [unrolled: 1-line block ×4, first 2 shown]
	v_pk_add_f32 v[20:21], v[88:89], v[94:95] op_sel:[0,1] op_sel_hi:[1,0]
	ds_write2_b64 v51, v[98:99], v[100:101] offset0:4 offset1:5
	v_mov_b32_e32 v98, v25
	v_mov_b32_e32 v99, v44
	ds_write_b64 v51, v[98:99] offset:48
	s_and_saveexec_b64 s[18:19], s[6:7]
	s_xor_b64 s[6:7], exec, s[18:19]
; %bb.18:
                                        ; implicit-def: $vgpr80_vgpr81
                                        ; implicit-def: $vgpr82_vgpr83
                                        ; implicit-def: $vgpr70_vgpr71
                                        ; implicit-def: $vgpr84_vgpr85
                                        ; implicit-def: $vgpr30_vgpr31
                                        ; implicit-def: $vgpr26_vgpr27
                                        ; implicit-def: $vgpr22_vgpr23
                                        ; implicit-def: $vgpr88_vgpr89
                                        ; implicit-def: $vgpr86_vgpr87
                                        ; implicit-def: $vgpr90_vgpr91
                                        ; implicit-def: $vgpr92_vgpr93
                                        ; implicit-def: $vgpr94_vgpr95
                                        ; implicit-def: $vgpr59
; %bb.19:
	s_andn2_saveexec_b64 s[6:7], s[6:7]
	s_cbranch_execz .LBB0_21
; %bb.20:
	v_pk_mul_f32 v[86:87], v[86:87], s[14:15] op_sel_hi:[1,0]
	v_pk_mul_f32 v[90:91], v[90:91], s[0:1] op_sel_hi:[1,0]
	v_pk_add_f32 v[70:71], v[84:85], v[70:71] neg_lo:[0,1] neg_hi:[0,1]
	v_pk_add_f32 v[80:81], v[82:83], v[80:81] neg_lo:[0,1] neg_hi:[0,1]
	s_mov_b32 s0, 0x3f3bfb3b
	s_mov_b32 s14, 0xbf5ff5aa
	v_pk_fma_f32 v[30:31], v[80:81], s[0:1], v[30:31] op_sel_hi:[1,0,1] neg_lo:[1,0,1] neg_hi:[1,0,1]
	v_pk_fma_f32 v[26:27], v[70:71], s[14:15], v[26:27] op_sel_hi:[1,0,1] neg_lo:[1,0,1] neg_hi:[1,0,1]
	v_pk_mul_f32 v[92:93], v[92:93], s[16:17] op_sel_hi:[1,0]
	v_pk_add_f32 v[30:31], v[30:31], v[22:23]
	v_pk_add_f32 v[26:27], v[86:87], v[26:27]
	v_mov_b32_e32 v98, v95
	v_pk_add_f32 v[82:83], v[30:31], v[26:27] op_sel:[1,0] op_sel_hi:[0,1]
	v_pk_add_f32 v[26:27], v[30:31], v[26:27] op_sel:[1,0] op_sel_hi:[0,1] neg_lo:[0,1] neg_hi:[0,1]
	v_pk_fma_f32 v[30:31], v[70:71], s[14:15], v[92:93] op_sel_hi:[1,0,1] neg_lo:[0,0,1] neg_hi:[0,0,1]
	v_pk_fma_f32 v[70:71], v[80:81], s[0:1], v[90:91] op_sel_hi:[1,0,1] neg_lo:[0,0,1] neg_hi:[0,0,1]
	v_mov_b32_e32 v99, v94
	v_pk_add_f32 v[30:31], v[86:87], v[30:31]
	v_pk_add_f32 v[22:23], v[70:71], v[22:23]
	v_pk_add_f32 v[88:89], v[88:89], v[98:99] neg_lo:[0,1] neg_hi:[0,1]
	v_pk_add_f32 v[70:71], v[22:23], v[30:31] op_sel:[0,1] op_sel_hi:[1,0] neg_lo:[0,1] neg_hi:[0,1]
	v_pk_add_f32 v[22:23], v[22:23], v[30:31] op_sel:[0,1] op_sel_hi:[1,0]
	v_lshlrev_b32_e32 v35, 3, v59
	v_mov_b32_e32 v84, v20
	v_mov_b32_e32 v85, v24
	;; [unrolled: 1-line block ×10, first 2 shown]
	ds_write2_b64 v35, v[28:29], v[84:85] offset1:1
	ds_write2_b64 v35, v[30:31], v[80:81] offset0:2 offset1:3
	ds_write2_b64 v35, v[22:23], v[26:27] offset0:4 offset1:5
	ds_write_b64 v35, v[88:89] offset:48
.LBB0_21:
	s_or_b64 exec, exec, s[6:7]
	s_waitcnt lgkmcnt(0)
	; wave barrier
	s_waitcnt lgkmcnt(0)
	s_and_saveexec_b64 s[0:1], s[4:5]
	s_xor_b64 s[0:1], exec, s[0:1]
	s_andn2_saveexec_b64 s[0:1], s[0:1]
	s_cbranch_execz .LBB0_23
; %bb.22:
	v_add_u32_e32 v20, 0x400, v46
	v_add_u32_e32 v21, 0x800, v46
	ds_read2_b64 v[26:29], v21 offset0:80 offset1:136
	ds_read2_b64 v[40:43], v20 offset0:96 offset1:152
	ds_read2_b64 v[80:83], v46 offset0:112 offset1:168
	ds_read2_b64 v[32:35], v46 offset1:56
	ds_read_b64 v[20:21], v46 offset:3584
	s_waitcnt lgkmcnt(4)
	v_mov_b32_e32 v44, v27
	s_waitcnt lgkmcnt(3)
	v_mov_b32_e32 v45, v43
	;; [unrolled: 2-line block ×3, first 2 shown]
	v_mov_b32_e32 v39, v40
	v_mov_b32_e32 v36, v80
	s_waitcnt lgkmcnt(1)
	v_mov_b32_e32 v37, v34
	s_waitcnt lgkmcnt(0)
	v_mov_b32_e32 v24, v21
	v_mov_b32_e32 v25, v26
	;; [unrolled: 1-line block ×7, first 2 shown]
.LBB0_23:
	s_or_b64 exec, exec, s[0:1]
	v_mov_b32_e32 v80, v18
	v_mov_b32_e32 v81, v18
	;; [unrolled: 1-line block ×23, first 2 shown]
	s_waitcnt lgkmcnt(0)
	; wave barrier
	s_and_saveexec_b64 s[0:1], s[2:3]
	s_cbranch_execz .LBB0_25
; %bb.24:
	v_pk_mul_f32 v[34:35], v[8:9], v[34:35] op_sel_hi:[1,0]
	v_pk_mul_f32 v[90:91], v[14:15], v[24:25] op_sel_hi:[1,0]
	;; [unrolled: 1-line block ×4, first 2 shown]
	v_add_lshl_u32 v47, v96, v47, 3
	v_pk_fma_f32 v[96:97], v[14:15], v[20:21], v[90:91] op_sel:[0,0,1] op_sel_hi:[1,1,0]
	v_pk_fma_f32 v[14:15], v[14:15], v[20:21], v[90:91] op_sel:[0,0,1] op_sel_hi:[1,0,0] neg_lo:[1,0,0] neg_hi:[1,0,0]
	v_pk_fma_f32 v[20:21], v[8:9], v[36:37], v[34:35] op_sel:[0,1,1] op_sel_hi:[1,1,0]
	v_pk_fma_f32 v[8:9], v[8:9], v[36:37], v[34:35] op_sel:[0,1,1] op_sel_hi:[1,1,0] neg_lo:[1,0,0] neg_hi:[1,0,0]
	;; [unrolled: 2-line block ×3, first 2 shown]
	v_pk_mul_f32 v[98:99], v[10:11], v[42:43] op_sel_hi:[1,0]
	v_pk_mul_f32 v[100:101], v[12:13], v[28:29] op_sel:[0,1]
	v_mov_b32_e32 v35, v7
	v_pk_fma_f32 v[6:7], v[0:1], v[42:43], v[92:93] op_sel:[0,1,1] op_sel_hi:[1,1,0]
	v_pk_fma_f32 v[0:1], v[0:1], v[42:43], v[92:93] op_sel:[0,1,1] op_sel_hi:[1,1,0] neg_lo:[1,0,0] neg_hi:[1,0,0]
	v_pk_mul_f32 v[44:45], v[4:5], v[44:45] op_sel:[0,1]
	v_mov_b32_e32 v7, v1
	v_pk_fma_f32 v[0:1], v[12:13], v[28:29], v[100:101] op_sel:[0,0,1] op_sel_hi:[1,1,0]
	v_pk_fma_f32 v[12:13], v[12:13], v[28:29], v[100:101] op_sel:[0,0,1] op_sel_hi:[1,0,0] neg_lo:[1,0,0] neg_hi:[1,0,0]
	v_pk_fma_f32 v[24:25], v[10:11], v[36:37], v[98:99] op_sel:[0,0,1] op_sel_hi:[1,1,0]
	v_pk_fma_f32 v[10:11], v[10:11], v[36:37], v[98:99] op_sel:[0,0,1] op_sel_hi:[1,0,0] neg_lo:[1,0,0] neg_hi:[1,0,0]
	s_mov_b32 s4, 0x3f248dbb
	v_pk_mul_f32 v[102:103], v[2:3], v[40:41] op_sel_hi:[1,0]
	v_mov_b32_e32 v1, v13
	v_mov_b32_e32 v25, v11
	v_pk_fma_f32 v[28:29], v[4:5], v[40:41], v[44:45] op_sel:[0,1,1] op_sel_hi:[1,1,0]
	v_pk_fma_f32 v[4:5], v[4:5], v[40:41], v[44:45] op_sel:[0,1,1] op_sel_hi:[1,1,0] neg_lo:[1,0,0] neg_hi:[1,0,0]
	v_mov_b32_e32 v10, v11
	v_mov_b32_e32 v11, v20
	;; [unrolled: 1-line block ×4, first 2 shown]
	s_mov_b32 s5, 0x3f7c1c5c
	v_mov_b32_e32 v21, v9
	v_mov_b32_e32 v29, v5
	v_pk_fma_f32 v[4:5], v[2:3], v[38:39], v[102:103] op_sel:[0,1,1] op_sel_hi:[1,1,0]
	v_pk_fma_f32 v[2:3], v[2:3], v[38:39], v[102:103] op_sel:[0,1,1] op_sel_hi:[1,1,0] neg_lo:[1,0,0] neg_hi:[1,0,0]
	v_pk_add_f32 v[10:11], v[10:11], v[12:13] neg_lo:[0,1] neg_hi:[0,1]
	v_mov_b32_e32 v8, v9
	v_mov_b32_e32 v9, v24
	;; [unrolled: 1-line block ×4, first 2 shown]
	s_mov_b32 s6, s5
	s_mov_b32 s7, s4
	v_mov_b32_e32 v5, v3
	v_pk_add_f32 v[2:3], v[0:1], v[24:25]
	v_pk_add_f32 v[36:37], v[34:35], v[6:7]
	v_pk_add_f32 v[0:1], v[8:9], v[12:13] neg_lo:[0,1] neg_hi:[0,1]
	v_pk_add_f32 v[6:7], v[6:7], v[34:35] neg_lo:[0,1] neg_hi:[0,1]
	s_mov_b32 s2, 0x3f5db3d7
	v_pk_mul_f32 v[12:13], v[10:11], s[6:7]
	v_mov_b32_e32 v97, v15
	v_pk_add_f32 v[8:9], v[4:5], v[28:29] neg_lo:[0,1] neg_hi:[0,1]
	v_pk_mul_f32 v[6:7], v[6:7], s[2:3] op_sel_hi:[1,0]
	v_pk_fma_f32 v[12:13], v[0:1], s[4:5], v[12:13]
	s_mov_b32 s6, 0x3eaf1d44
	v_pk_add_f32 v[38:39], v[96:97], v[20:21]
	v_pk_add_f32 v[12:13], v[6:7], v[12:13] op_sel:[1,0] op_sel_hi:[0,1]
	v_pk_mul_f32 v[14:15], v[8:9], s[6:7] op_sel_hi:[1,0]
	s_mov_b32 s16, 0x3f441b7d
	v_pk_add_f32 v[40:41], v[2:3], v[38:39]
	v_pk_add_f32 v[12:13], v[14:15], v[12:13] op_sel:[1,0] op_sel_hi:[0,1]
	s_mov_b32 s14, 0x3e31d0d4
	v_pk_fma_f32 v[14:15], v[38:39], s[16:17], v[32:33] op_sel_hi:[1,0,1]
	v_pk_add_f32 v[42:43], v[36:37], v[40:41]
	v_pk_fma_f32 v[14:15], v[2:3], s[14:15], v[14:15] op_sel_hi:[1,0,1]
	v_pk_add_f32 v[42:43], v[4:5], v[42:43]
	v_pk_add_f32 v[4:5], v[28:29], v[4:5]
	v_pk_fma_f32 v[14:15], v[36:37], 0.5, v[14:15] op_sel_hi:[1,0,1] neg_lo:[1,0,0] neg_hi:[1,0,0]
	s_mov_b32 s18, 0x3f708fb2
	v_pk_fma_f32 v[14:15], v[4:5], s[18:19], v[14:15] op_sel_hi:[1,0,1] neg_lo:[1,0,0] neg_hi:[1,0,0]
	v_pk_add_f32 v[42:43], v[28:29], v[42:43]
	v_pk_add_f32 v[20:21], v[14:15], v[12:13] neg_lo:[0,1] neg_hi:[0,1]
	v_pk_add_f32 v[14:15], v[14:15], v[12:13]
	v_pk_add_f32 v[42:43], v[32:33], v[42:43]
	v_mov_b32_e32 v21, v15
	v_fma_f32 v25, -2.0, v13, v15
	v_mov_b32_e32 v24, v20
	ds_write2_b64 v47, v[42:43], v[20:21] offset1:7
	v_mov_b32_e32 v14, v0
	v_mov_b32_e32 v15, v11
	s_mov_b32 s20, s5
	v_pk_mul_f32 v[20:21], v[8:9], s[4:5] op_sel_hi:[1,0]
	v_pk_fma_f32 v[28:29], v[4:5], s[16:17], v[32:33] op_sel_hi:[1,0,1]
	v_pk_fma_f32 v[20:21], v[14:15], s[20:21], v[20:21] op_sel:[0,0,1] op_sel_hi:[1,0,0] neg_lo:[0,0,1] neg_hi:[0,0,1]
	v_pk_fma_f32 v[28:29], v[38:39], s[14:15], v[28:29] op_sel_hi:[1,0,1]
	v_fmac_f32_e32 v24, 2.0, v12
	v_mov_b32_e32 v12, v10
	v_mov_b32_e32 v13, v1
	v_pk_add_f32 v[20:21], v[20:21], v[6:7] op_sel:[0,1] op_sel_hi:[1,0] neg_lo:[0,1] neg_hi:[0,1]
	v_pk_fma_f32 v[28:29], v[36:37], 0.5, v[28:29] op_sel_hi:[1,0,1] neg_lo:[1,0,0] neg_hi:[1,0,0]
	v_pk_fma_f32 v[20:21], v[12:13], s[6:7], v[20:21] op_sel_hi:[1,0,1]
	v_pk_fma_f32 v[28:29], v[2:3], s[18:19], v[28:29] op_sel_hi:[1,0,1] neg_lo:[1,0,0] neg_hi:[1,0,0]
	s_nop 0
	v_pk_add_f32 v[34:35], v[28:29], v[20:21] neg_lo:[0,1] neg_hi:[0,1]
	v_pk_add_f32 v[28:29], v[28:29], v[20:21]
	v_mov_b32_e32 v42, v34
	v_fma_f32 v43, -2.0, v21, v29
	v_mov_b32_e32 v35, v29
	v_mov_b32_e32 v28, v11
	;; [unrolled: 1-line block ×3, first 2 shown]
	v_pk_add_f32 v[28:29], v[8:9], v[28:29]
	v_mov_b32_e32 v0, v1
	v_mov_b32_e32 v1, v10
	v_fmac_f32_e32 v42, 2.0, v20
	v_pk_add_f32 v[20:21], v[36:37], v[32:33]
	v_pk_add_f32 v[0:1], v[28:29], v[0:1] neg_lo:[0,1] neg_hi:[0,1]
	v_pk_add_f32 v[10:11], v[4:5], v[40:41]
	v_pk_mul_f32 v[0:1], v[0:1], s[2:3] op_sel_hi:[1,0]
	v_pk_fma_f32 v[10:11], v[10:11], 0.5, v[20:21] op_sel_hi:[1,0,1] neg_lo:[1,0,0] neg_hi:[1,0,0]
	s_mov_b32 s2, 0xbf248dbb
	v_pk_add_f32 v[20:21], v[10:11], v[0:1] op_sel:[0,1] op_sel_hi:[1,0] neg_lo:[0,1] neg_hi:[0,1]
	v_pk_add_f32 v[10:11], v[10:11], v[0:1] op_sel:[0,1] op_sel_hi:[1,0]
	v_mov_b32_e32 v28, v20
	v_fma_f32 v29, -2.0, v0, v11
	v_fmac_f32_e32 v28, 2.0, v1
	v_pk_fma_f32 v[0:1], v[2:3], s[16:17], v[32:33] op_sel_hi:[1,0,1]
	v_pk_mul_f32 v[2:3], v[8:9], s[20:21] op_sel_hi:[1,0]
	v_pk_fma_f32 v[0:1], v[4:5], s[14:15], v[0:1] op_sel_hi:[1,0,1]
	v_pk_fma_f32 v[2:3], v[12:13], s[2:3], v[2:3] op_sel:[0,0,1] op_sel_hi:[1,0,0] neg_lo:[0,0,1] neg_hi:[0,0,1]
	v_pk_fma_f32 v[0:1], v[36:37], 0.5, v[0:1] op_sel_hi:[1,0,1] neg_lo:[1,0,0] neg_hi:[1,0,0]
	v_pk_add_f32 v[2:3], v[6:7], v[2:3] op_sel:[1,0] op_sel_hi:[0,1]
	v_pk_fma_f32 v[2:3], v[14:15], s[6:7], v[2:3] op_sel_hi:[1,0,1]
	v_pk_fma_f32 v[0:1], v[38:39], s[18:19], v[0:1] op_sel_hi:[1,0,1] neg_lo:[1,0,0] neg_hi:[1,0,0]
	v_mov_b32_e32 v21, v11
	v_pk_add_f32 v[4:5], v[0:1], v[2:3] neg_lo:[0,1] neg_hi:[0,1]
	v_pk_add_f32 v[0:1], v[0:1], v[2:3]
	v_mov_b32_e32 v6, v4
	v_fma_f32 v7, -2.0, v3, v1
	v_mov_b32_e32 v5, v1
	v_fmac_f32_e32 v6, 2.0, v2
	ds_write2_b64 v47, v[34:35], v[20:21] offset0:14 offset1:21
	ds_write2_b64 v47, v[4:5], v[6:7] offset0:28 offset1:35
	;; [unrolled: 1-line block ×3, first 2 shown]
	ds_write_b64 v47, v[24:25] offset:448
.LBB0_25:
	s_or_b64 exec, exec, s[0:1]
	s_waitcnt lgkmcnt(0)
	; wave barrier
	s_waitcnt lgkmcnt(0)
	ds_read2_b64 v[4:7], v46 offset0:126 offset1:189
	v_add_u32_e32 v2, 0x800, v46
	v_add_u32_e32 v3, 0x400, v46
	ds_read2_b64 v[8:11], v2 offset0:122 offset1:185
	ds_read2_b64 v[12:15], v46 offset1:63
	ds_read2_b64 v[32:35], v3 offset0:124 offset1:187
	s_waitcnt lgkmcnt(3)
	v_pk_mul_f32 v[20:21], v[88:89], v[4:5]
	s_waitcnt lgkmcnt(0)
	v_pk_fma_f32 v[24:25], v[86:87], v[4:5], v[20:21] op_sel:[0,0,1] op_sel_hi:[1,1,0]
	v_pk_fma_f32 v[4:5], v[86:87], v[4:5], v[20:21] op_sel:[0,0,1] op_sel_hi:[1,1,0] neg_lo:[0,0,1] neg_hi:[0,0,1]
	; wave barrier
	s_nop 0
	v_mov_b32_e32 v25, v5
	v_pk_mul_f32 v[4:5], v[18:19], v[32:33]
	v_mov_b32_e32 v0, s12
	v_pk_fma_f32 v[20:21], v[80:81], v[32:33], v[4:5] op_sel:[0,0,1] op_sel_hi:[1,1,0]
	v_pk_fma_f32 v[4:5], v[80:81], v[32:33], v[4:5] op_sel:[0,0,1] op_sel_hi:[1,1,0] neg_lo:[0,0,1] neg_hi:[0,0,1]
	v_mov_b32_e32 v1, s13
	v_mov_b32_e32 v21, v5
	v_pk_mul_f32 v[4:5], v[84:85], v[8:9]
	s_nop 0
	v_pk_fma_f32 v[28:29], v[82:83], v[8:9], v[4:5] op_sel:[0,0,1] op_sel_hi:[1,1,0]
	v_pk_fma_f32 v[4:5], v[82:83], v[8:9], v[4:5] op_sel:[0,0,1] op_sel_hi:[1,1,0] neg_lo:[0,0,1] neg_hi:[0,0,1]
	s_nop 0
	v_mov_b32_e32 v29, v5
	v_pk_add_f32 v[4:5], v[12:13], v[20:21] neg_lo:[0,1] neg_hi:[0,1]
	s_nop 0
	v_pk_fma_f32 v[8:9], v[12:13], 2.0, v[4:5] op_sel_hi:[1,0,1] neg_lo:[0,0,1] neg_hi:[0,0,1]
	v_pk_add_f32 v[12:13], v[24:25], v[28:29] neg_lo:[0,1] neg_hi:[0,1]
	v_pk_mul_f32 v[28:29], v[16:17], v[6:7] op_sel_hi:[1,0]
	v_pk_fma_f32 v[20:21], v[24:25], 2.0, v[12:13] op_sel_hi:[1,0,1] neg_lo:[0,0,1] neg_hi:[0,0,1]
	v_pk_add_f32 v[24:25], v[4:5], v[12:13] op_sel:[0,1] op_sel_hi:[1,0]
	v_pk_add_f32 v[12:13], v[4:5], v[12:13] op_sel:[0,1] op_sel_hi:[1,0] neg_lo:[0,1] neg_hi:[0,1]
	v_pk_add_f32 v[20:21], v[8:9], v[20:21] neg_lo:[0,1] neg_hi:[0,1]
	v_mov_b32_e32 v12, v7
	v_mov_b32_e32 v25, v13
	v_pk_fma_f32 v[12:13], v[16:17], v[12:13], v[28:29] op_sel:[0,0,1] op_sel_hi:[1,1,0] neg_lo:[0,0,1] neg_hi:[0,0,1]
	v_pk_fma_f32 v[6:7], v[16:17], v[6:7], v[28:29] op_sel:[0,1,1] op_sel_hi:[1,1,0]
	v_pk_fma_f32 v[8:9], v[8:9], 2.0, v[20:21] op_sel_hi:[1,0,1] neg_lo:[0,0,1] neg_hi:[0,0,1]
	v_mov_b32_e32 v13, v7
	v_pk_mul_f32 v[6:7], v[18:19], v[34:35]
	v_pk_mul_f32 v[18:19], v[68:69], v[10:11] op_sel_hi:[1,0]
	v_pk_fma_f32 v[16:17], v[80:81], v[34:35], v[6:7] op_sel:[0,0,1] op_sel_hi:[1,1,0]
	v_pk_fma_f32 v[6:7], v[80:81], v[34:35], v[6:7] op_sel:[0,0,1] op_sel_hi:[1,1,0] neg_lo:[0,0,1] neg_hi:[0,0,1]
	v_pk_fma_f32 v[4:5], v[4:5], 2.0, v[24:25] op_sel_hi:[1,0,1] neg_lo:[0,0,1] neg_hi:[0,0,1]
	v_mov_b32_e32 v6, v11
	v_mov_b32_e32 v17, v7
	v_pk_fma_f32 v[6:7], v[68:69], v[6:7], v[18:19] op_sel:[0,0,1] op_sel_hi:[1,1,0] neg_lo:[0,0,1] neg_hi:[0,0,1]
	v_pk_fma_f32 v[10:11], v[68:69], v[10:11], v[18:19] op_sel:[0,1,1] op_sel_hi:[1,1,0]
	ds_write2_b64 v46, v[8:9], v[4:5] offset1:63
	ds_write2_b64 v46, v[20:21], v[24:25] offset0:126 offset1:189
	v_mov_b32_e32 v7, v11
	v_pk_add_f32 v[10:11], v[14:15], v[16:17] neg_lo:[0,1] neg_hi:[0,1]
	v_pk_add_f32 v[6:7], v[12:13], v[6:7] neg_lo:[0,1] neg_hi:[0,1]
	v_pk_fma_f32 v[8:9], v[14:15], 2.0, v[10:11] op_sel_hi:[1,0,1] neg_lo:[0,0,1] neg_hi:[0,0,1]
	v_pk_add_f32 v[16:17], v[10:11], v[6:7]
	v_pk_add_f32 v[18:19], v[10:11], v[6:7] neg_lo:[0,1] neg_hi:[0,1]
	v_pk_fma_f32 v[6:7], v[12:13], 2.0, v[6:7] op_sel_hi:[1,0,1] neg_lo:[0,0,1] neg_hi:[0,0,1]
	v_mov_b32_e32 v17, v19
	v_pk_add_f32 v[6:7], v[8:9], v[6:7] op_sel:[0,1] op_sel_hi:[1,0] neg_lo:[0,1] neg_hi:[0,1]
	v_pk_fma_f32 v[4:5], v[10:11], 2.0, v[16:17] op_sel_hi:[1,0,1] neg_lo:[0,0,1] neg_hi:[0,0,1]
	v_pk_fma_f32 v[8:9], v[8:9], 2.0, v[6:7] op_sel_hi:[1,0,1] neg_lo:[0,0,1] neg_hi:[0,0,1]
	ds_write2_b64 v3, v[8:9], v[4:5] offset0:124 offset1:187
	ds_write2_b64 v2, v[6:7], v[16:17] offset0:122 offset1:185
	s_waitcnt lgkmcnt(0)
	; wave barrier
	s_waitcnt lgkmcnt(0)
	ds_read2_b64 v[4:7], v3 offset0:124 offset1:187
	ds_read2_b64 v[8:11], v46 offset1:63
	v_mad_u64_u32 v[12:13], s[0:1], s10, v58, 0
	s_waitcnt lgkmcnt(1)
	v_pk_mul_f32 v[14:15], v[78:79], v[4:5]
	s_nop 0
	v_pk_fma_f32 v[16:17], v[70:71], v[4:5], v[14:15] op_sel:[0,0,1] op_sel_hi:[1,1,0]
	v_pk_fma_f32 v[4:5], v[70:71], v[4:5], v[14:15] op_sel:[0,0,1] op_sel_hi:[1,1,0] neg_lo:[0,0,1] neg_hi:[0,0,1]
	s_nop 0
	v_mov_b32_e32 v17, v5
	v_pk_mul_f32 v[4:5], v[76:77], v[6:7]
	s_waitcnt lgkmcnt(0)
	v_pk_add_f32 v[16:17], v[8:9], v[16:17] neg_lo:[0,1] neg_hi:[0,1]
	v_pk_fma_f32 v[14:15], v[30:31], v[6:7], v[4:5] op_sel:[0,0,1] op_sel_hi:[1,1,0]
	v_pk_fma_f32 v[4:5], v[30:31], v[6:7], v[4:5] op_sel:[0,0,1] op_sel_hi:[1,1,0] neg_lo:[0,0,1] neg_hi:[0,0,1]
	v_pk_fma_f32 v[18:19], v[8:9], 2.0, v[16:17] op_sel_hi:[1,0,1] neg_lo:[0,0,1] neg_hi:[0,0,1]
	v_mov_b32_e32 v15, v5
	v_pk_add_f32 v[14:15], v[10:11], v[14:15] neg_lo:[0,1] neg_hi:[0,1]
	ds_write_b64 v46, v[14:15] offset:2520
	ds_read2_b64 v[4:7], v2 offset0:122 offset1:185
	v_pk_fma_f32 v[14:15], v[10:11], 2.0, v[14:15] op_sel_hi:[1,0,1] neg_lo:[0,0,1] neg_hi:[0,0,1]
	ds_read2_b64 v[8:11], v46 offset0:126 offset1:189
	ds_write2_b64 v46, v[18:19], v[14:15] offset1:63
	s_waitcnt lgkmcnt(2)
	v_pk_mul_f32 v[20:21], v[74:75], v[4:5]
	v_pk_mul_f32 v[14:15], v[72:73], v[6:7]
	v_pk_fma_f32 v[24:25], v[26:27], v[4:5], v[20:21] op_sel:[0,0,1] op_sel_hi:[1,1,0]
	v_pk_fma_f32 v[4:5], v[26:27], v[4:5], v[20:21] op_sel:[0,0,1] op_sel_hi:[1,1,0] neg_lo:[0,0,1] neg_hi:[0,0,1]
	v_pk_fma_f32 v[18:19], v[22:23], v[6:7], v[14:15] op_sel:[0,0,1] op_sel_hi:[1,1,0]
	v_pk_fma_f32 v[6:7], v[22:23], v[6:7], v[14:15] op_sel:[0,0,1] op_sel_hi:[1,1,0] neg_lo:[0,0,1] neg_hi:[0,0,1]
	v_mov_b32_e32 v25, v5
	v_mov_b32_e32 v19, v7
	s_waitcnt lgkmcnt(1)
	v_pk_add_f32 v[4:5], v[8:9], v[24:25] neg_lo:[0,1] neg_hi:[0,1]
	v_pk_add_f32 v[6:7], v[10:11], v[18:19] neg_lo:[0,1] neg_hi:[0,1]
	v_pk_fma_f32 v[8:9], v[8:9], 2.0, v[4:5] op_sel_hi:[1,0,1] neg_lo:[0,0,1] neg_hi:[0,0,1]
	v_pk_fma_f32 v[10:11], v[10:11], 2.0, v[6:7] op_sel_hi:[1,0,1] neg_lo:[0,0,1] neg_hi:[0,0,1]
	ds_write_b64 v46, v[16:17] offset:2016
	ds_write2_b64 v46, v[8:9], v[10:11] offset0:126 offset1:189
	ds_write2_b64 v2, v[4:5], v[6:7] offset0:122 offset1:185
	s_waitcnt lgkmcnt(0)
	; wave barrier
	s_waitcnt lgkmcnt(0)
	ds_read2_b64 v[4:7], v46 offset1:72
	v_mov_b32_e32 v8, v13
	v_mad_u64_u32 v[8:9], s[0:1], s11, v58, v[8:9]
	v_mov_b32_e32 v13, v8
	s_waitcnt lgkmcnt(0)
	v_mul_f32_e32 v8, v67, v5
	v_fmac_f32_e32 v8, v66, v4
	v_mul_f32_e32 v4, v67, v4
	s_mov_b32 s0, 0x10410410
	v_fma_f32 v4, v66, v5, -v4
	v_cvt_f64_f32_e32 v[8:9], v8
	s_mov_b32 s1, 0x3f604104
	v_cvt_f64_f32_e32 v[4:5], v4
	v_mul_f64 v[8:9], v[8:9], s[0:1]
	v_mul_f64 v[4:5], v[4:5], s[0:1]
	v_cvt_f32_f64_e32 v8, v[8:9]
	v_cvt_f32_f64_e32 v9, v[4:5]
	v_mad_u64_u32 v[4:5], s[2:3], s8, v50, 0
	v_mov_b32_e32 v10, v5
	v_mad_u64_u32 v[10:11], s[2:3], s9, v50, v[10:11]
	v_mov_b32_e32 v5, v10
	v_lshl_add_u64 v[0:1], v[12:13], 3, v[0:1]
	v_lshl_add_u64 v[0:1], v[4:5], 3, v[0:1]
	v_mul_f32_e32 v4, v65, v7
	v_fmac_f32_e32 v4, v64, v6
	v_cvt_f64_f32_e32 v[4:5], v4
	v_mul_f64 v[4:5], v[4:5], s[0:1]
	global_store_dwordx2 v[0:1], v[8:9], off
	v_cvt_f32_f64_e32 v8, v[4:5]
	v_mul_f32_e32 v4, v65, v6
	v_fma_f32 v4, v64, v7, -v4
	v_cvt_f64_f32_e32 v[4:5], v4
	v_mul_f64 v[4:5], v[4:5], s[0:1]
	v_cvt_f32_f64_e32 v9, v[4:5]
	ds_read2_b64 v[4:7], v46 offset0:144 offset1:216
	s_mul_i32 s2, s9, 0x48
	s_mul_hi_u32 s3, s8, 0x48
	s_add_i32 s3, s3, s2
	s_mul_i32 s2, s8, 0x48
	s_lshl_b64 s[2:3], s[2:3], 3
	v_lshl_add_u64 v[0:1], v[0:1], 0, s[2:3]
	global_store_dwordx2 v[0:1], v[8:9], off
	s_waitcnt lgkmcnt(0)
	v_mul_f32_e32 v8, v63, v5
	v_fmac_f32_e32 v8, v62, v4
	v_mul_f32_e32 v4, v63, v4
	v_fma_f32 v4, v62, v5, -v4
	v_cvt_f64_f32_e32 v[8:9], v8
	v_cvt_f64_f32_e32 v[4:5], v4
	v_mul_f64 v[8:9], v[8:9], s[0:1]
	v_mul_f64 v[4:5], v[4:5], s[0:1]
	v_cvt_f32_f64_e32 v8, v[8:9]
	v_cvt_f32_f64_e32 v9, v[4:5]
	v_mul_f32_e32 v4, v61, v7
	v_fmac_f32_e32 v4, v60, v6
	v_cvt_f64_f32_e32 v[4:5], v4
	v_lshl_add_u64 v[0:1], v[0:1], 0, s[2:3]
	v_mul_f64 v[4:5], v[4:5], s[0:1]
	global_store_dwordx2 v[0:1], v[8:9], off
	v_cvt_f32_f64_e32 v8, v[4:5]
	v_mul_f32_e32 v4, v61, v6
	v_fma_f32 v4, v60, v7, -v4
	v_cvt_f64_f32_e32 v[10:11], v4
	ds_read2_b64 v[4:7], v2 offset0:32 offset1:104
	v_mul_f64 v[10:11], v[10:11], s[0:1]
	v_cvt_f32_f64_e32 v9, v[10:11]
	v_lshl_add_u64 v[0:1], v[0:1], 0, s[2:3]
	global_store_dwordx2 v[0:1], v[8:9], off
	s_waitcnt lgkmcnt(0)
	v_mul_f32_e32 v8, v57, v5
	v_fmac_f32_e32 v8, v56, v4
	v_mul_f32_e32 v4, v57, v4
	v_fma_f32 v4, v56, v5, -v4
	v_cvt_f64_f32_e32 v[8:9], v8
	v_cvt_f64_f32_e32 v[4:5], v4
	v_mul_f64 v[8:9], v[8:9], s[0:1]
	v_mul_f64 v[4:5], v[4:5], s[0:1]
	v_cvt_f32_f64_e32 v8, v[8:9]
	v_cvt_f32_f64_e32 v9, v[4:5]
	v_mul_f32_e32 v4, v55, v7
	v_fmac_f32_e32 v4, v54, v6
	v_cvt_f64_f32_e32 v[4:5], v4
	v_lshl_add_u64 v[0:1], v[0:1], 0, s[2:3]
	v_mul_f64 v[4:5], v[4:5], s[0:1]
	global_store_dwordx2 v[0:1], v[8:9], off
	v_cvt_f32_f64_e32 v4, v[4:5]
	v_mul_f32_e32 v5, v55, v6
	ds_read_b64 v[8:9], v46 offset:3456
	v_fma_f32 v5, v54, v7, -v5
	v_cvt_f64_f32_e32 v[6:7], v5
	v_mul_f64 v[6:7], v[6:7], s[0:1]
	v_cvt_f32_f64_e32 v5, v[6:7]
	v_lshl_add_u64 v[0:1], v[0:1], 0, s[2:3]
	global_store_dwordx2 v[0:1], v[4:5], off
	s_waitcnt lgkmcnt(0)
	v_mul_f32_e32 v4, v53, v9
	v_fmac_f32_e32 v4, v52, v8
	v_cvt_f64_f32_e32 v[4:5], v4
	v_mul_f64 v[4:5], v[4:5], s[0:1]
	v_cvt_f32_f64_e32 v4, v[4:5]
	v_mul_f32_e32 v5, v53, v8
	v_fma_f32 v5, v52, v9, -v5
	v_cvt_f64_f32_e32 v[6:7], v5
	v_mul_f64 v[6:7], v[6:7], s[0:1]
	v_cvt_f32_f64_e32 v5, v[6:7]
	v_lshl_add_u64 v[0:1], v[0:1], 0, s[2:3]
	global_store_dwordx2 v[0:1], v[4:5], off
	s_and_b64 exec, exec, vcc
	s_cbranch_execz .LBB0_27
; %bb.26:
	global_load_dwordx2 v[16:17], v[48:49], off offset:504
	global_load_dwordx2 v[18:19], v[48:49], off offset:1080
	;; [unrolled: 1-line block ×5, first 2 shown]
	ds_read2_b64 v[4:7], v46 offset0:63 offset1:135
	ds_read2_b64 v[8:11], v3 offset0:79 offset1:151
	ds_read2_b64 v[12:15], v2 offset0:95 offset1:167
	v_mov_b32_e32 v26, 0xfffff478
	s_mul_i32 s6, s9, 0xfffff478
	v_mad_u64_u32 v[0:1], s[4:5], s8, v26, v[0:1]
	s_sub_i32 s4, s6, s8
	s_nop 0
	v_add_u32_e32 v1, s4, v1
	v_lshl_add_u64 v[2:3], v[0:1], 0, s[2:3]
	v_lshl_add_u64 v[26:27], v[2:3], 0, s[2:3]
	;; [unrolled: 1-line block ×4, first 2 shown]
	s_waitcnt vmcnt(4) lgkmcnt(2)
	v_mul_f32_e32 v32, v5, v17
	v_mul_f32_e32 v17, v4, v17
	s_waitcnt vmcnt(3)
	v_mul_f32_e32 v33, v7, v19
	v_mul_f32_e32 v19, v6, v19
	s_waitcnt vmcnt(2) lgkmcnt(1)
	v_mul_f32_e32 v34, v9, v21
	v_mul_f32_e32 v21, v8, v21
	s_waitcnt vmcnt(1)
	v_mul_f32_e32 v35, v11, v23
	v_mul_f32_e32 v23, v10, v23
	s_waitcnt vmcnt(0) lgkmcnt(0)
	v_mul_f32_e32 v36, v13, v25
	v_mul_f32_e32 v25, v12, v25
	v_fmac_f32_e32 v32, v4, v16
	v_fma_f32 v16, v16, v5, -v17
	v_fmac_f32_e32 v33, v6, v18
	v_fma_f32 v17, v18, v7, -v19
	;; [unrolled: 2-line block ×5, first 2 shown]
	v_cvt_f64_f32_e32 v[4:5], v32
	v_cvt_f64_f32_e32 v[6:7], v16
	;; [unrolled: 1-line block ×10, first 2 shown]
	v_mul_f64 v[4:5], v[4:5], s[0:1]
	v_mul_f64 v[6:7], v[6:7], s[0:1]
	;; [unrolled: 1-line block ×10, first 2 shown]
	v_cvt_f32_f64_e32 v4, v[4:5]
	v_cvt_f32_f64_e32 v5, v[6:7]
	;; [unrolled: 1-line block ×10, first 2 shown]
	global_store_dwordx2 v[0:1], v[4:5], off
	global_store_dwordx2 v[2:3], v[6:7], off
	;; [unrolled: 1-line block ×5, first 2 shown]
	global_load_dwordx2 v[0:1], v[48:49], off offset:3384
	v_lshl_add_u64 v[2:3], v[30:31], 0, s[2:3]
	s_waitcnt vmcnt(0)
	v_mul_f32_e32 v4, v15, v1
	v_mul_f32_e32 v1, v14, v1
	v_fmac_f32_e32 v4, v14, v0
	v_fma_f32 v5, v0, v15, -v1
	v_cvt_f64_f32_e32 v[0:1], v4
	v_cvt_f64_f32_e32 v[4:5], v5
	v_mul_f64 v[0:1], v[0:1], s[0:1]
	v_mul_f64 v[4:5], v[4:5], s[0:1]
	v_cvt_f32_f64_e32 v0, v[0:1]
	v_cvt_f32_f64_e32 v1, v[4:5]
	global_store_dwordx2 v[2:3], v[0:1], off
	global_load_dwordx2 v[0:1], v[48:49], off offset:3960
	ds_read_b64 v[4:5], v46 offset:3960
	v_lshl_add_u64 v[2:3], v[2:3], 0, s[2:3]
	s_waitcnt vmcnt(0) lgkmcnt(0)
	v_mul_f32_e32 v6, v5, v1
	v_mul_f32_e32 v1, v4, v1
	v_fmac_f32_e32 v6, v4, v0
	v_fma_f32 v4, v0, v5, -v1
	v_cvt_f64_f32_e32 v[0:1], v6
	v_cvt_f64_f32_e32 v[4:5], v4
	v_mul_f64 v[0:1], v[0:1], s[0:1]
	v_mul_f64 v[4:5], v[4:5], s[0:1]
	v_cvt_f32_f64_e32 v0, v[0:1]
	v_cvt_f32_f64_e32 v1, v[4:5]
	global_store_dwordx2 v[2:3], v[0:1], off
.LBB0_27:
	s_endpgm
	.section	.rodata,"a",@progbits
	.p2align	6, 0x0
	.amdhsa_kernel bluestein_single_fwd_len504_dim1_sp_op_CI_CI
		.amdhsa_group_segment_fixed_size 4032
		.amdhsa_private_segment_fixed_size 0
		.amdhsa_kernarg_size 104
		.amdhsa_user_sgpr_count 2
		.amdhsa_user_sgpr_dispatch_ptr 0
		.amdhsa_user_sgpr_queue_ptr 0
		.amdhsa_user_sgpr_kernarg_segment_ptr 1
		.amdhsa_user_sgpr_dispatch_id 0
		.amdhsa_user_sgpr_kernarg_preload_length 0
		.amdhsa_user_sgpr_kernarg_preload_offset 0
		.amdhsa_user_sgpr_private_segment_size 0
		.amdhsa_uses_dynamic_stack 0
		.amdhsa_enable_private_segment 0
		.amdhsa_system_sgpr_workgroup_id_x 1
		.amdhsa_system_sgpr_workgroup_id_y 0
		.amdhsa_system_sgpr_workgroup_id_z 0
		.amdhsa_system_sgpr_workgroup_info 0
		.amdhsa_system_vgpr_workitem_id 0
		.amdhsa_next_free_vgpr 106
		.amdhsa_next_free_sgpr 32
		.amdhsa_accum_offset 108
		.amdhsa_reserve_vcc 1
		.amdhsa_float_round_mode_32 0
		.amdhsa_float_round_mode_16_64 0
		.amdhsa_float_denorm_mode_32 3
		.amdhsa_float_denorm_mode_16_64 3
		.amdhsa_dx10_clamp 1
		.amdhsa_ieee_mode 1
		.amdhsa_fp16_overflow 0
		.amdhsa_tg_split 0
		.amdhsa_exception_fp_ieee_invalid_op 0
		.amdhsa_exception_fp_denorm_src 0
		.amdhsa_exception_fp_ieee_div_zero 0
		.amdhsa_exception_fp_ieee_overflow 0
		.amdhsa_exception_fp_ieee_underflow 0
		.amdhsa_exception_fp_ieee_inexact 0
		.amdhsa_exception_int_div_zero 0
	.end_amdhsa_kernel
	.text
.Lfunc_end0:
	.size	bluestein_single_fwd_len504_dim1_sp_op_CI_CI, .Lfunc_end0-bluestein_single_fwd_len504_dim1_sp_op_CI_CI
                                        ; -- End function
	.section	.AMDGPU.csdata,"",@progbits
; Kernel info:
; codeLenInByte = 9248
; NumSgprs: 38
; NumVgprs: 106
; NumAgprs: 0
; TotalNumVgprs: 106
; ScratchSize: 0
; MemoryBound: 0
; FloatMode: 240
; IeeeMode: 1
; LDSByteSize: 4032 bytes/workgroup (compile time only)
; SGPRBlocks: 4
; VGPRBlocks: 13
; NumSGPRsForWavesPerEU: 38
; NumVGPRsForWavesPerEU: 106
; AccumOffset: 108
; Occupancy: 4
; WaveLimiterHint : 1
; COMPUTE_PGM_RSRC2:SCRATCH_EN: 0
; COMPUTE_PGM_RSRC2:USER_SGPR: 2
; COMPUTE_PGM_RSRC2:TRAP_HANDLER: 0
; COMPUTE_PGM_RSRC2:TGID_X_EN: 1
; COMPUTE_PGM_RSRC2:TGID_Y_EN: 0
; COMPUTE_PGM_RSRC2:TGID_Z_EN: 0
; COMPUTE_PGM_RSRC2:TIDIG_COMP_CNT: 0
; COMPUTE_PGM_RSRC3_GFX90A:ACCUM_OFFSET: 26
; COMPUTE_PGM_RSRC3_GFX90A:TG_SPLIT: 0
	.text
	.p2alignl 6, 3212836864
	.fill 256, 4, 3212836864
	.type	__hip_cuid_cff48605781c4d9b,@object ; @__hip_cuid_cff48605781c4d9b
	.section	.bss,"aw",@nobits
	.globl	__hip_cuid_cff48605781c4d9b
__hip_cuid_cff48605781c4d9b:
	.byte	0                               ; 0x0
	.size	__hip_cuid_cff48605781c4d9b, 1

	.ident	"AMD clang version 19.0.0git (https://github.com/RadeonOpenCompute/llvm-project roc-6.4.0 25133 c7fe45cf4b819c5991fe208aaa96edf142730f1d)"
	.section	".note.GNU-stack","",@progbits
	.addrsig
	.addrsig_sym __hip_cuid_cff48605781c4d9b
	.amdgpu_metadata
---
amdhsa.kernels:
  - .agpr_count:     0
    .args:
      - .actual_access:  read_only
        .address_space:  global
        .offset:         0
        .size:           8
        .value_kind:     global_buffer
      - .actual_access:  read_only
        .address_space:  global
        .offset:         8
        .size:           8
        .value_kind:     global_buffer
      - .actual_access:  read_only
        .address_space:  global
        .offset:         16
        .size:           8
        .value_kind:     global_buffer
      - .actual_access:  read_only
        .address_space:  global
        .offset:         24
        .size:           8
        .value_kind:     global_buffer
      - .actual_access:  read_only
        .address_space:  global
        .offset:         32
        .size:           8
        .value_kind:     global_buffer
      - .offset:         40
        .size:           8
        .value_kind:     by_value
      - .address_space:  global
        .offset:         48
        .size:           8
        .value_kind:     global_buffer
      - .address_space:  global
        .offset:         56
        .size:           8
        .value_kind:     global_buffer
      - .address_space:  global
        .offset:         64
        .size:           8
        .value_kind:     global_buffer
      - .address_space:  global
        .offset:         72
        .size:           8
        .value_kind:     global_buffer
      - .offset:         80
        .size:           4
        .value_kind:     by_value
      - .address_space:  global
        .offset:         88
        .size:           8
        .value_kind:     global_buffer
      - .address_space:  global
        .offset:         96
        .size:           8
        .value_kind:     global_buffer
    .group_segment_fixed_size: 4032
    .kernarg_segment_align: 8
    .kernarg_segment_size: 104
    .language:       OpenCL C
    .language_version:
      - 2
      - 0
    .max_flat_workgroup_size: 63
    .name:           bluestein_single_fwd_len504_dim1_sp_op_CI_CI
    .private_segment_fixed_size: 0
    .sgpr_count:     38
    .sgpr_spill_count: 0
    .symbol:         bluestein_single_fwd_len504_dim1_sp_op_CI_CI.kd
    .uniform_work_group_size: 1
    .uses_dynamic_stack: false
    .vgpr_count:     106
    .vgpr_spill_count: 0
    .wavefront_size: 64
amdhsa.target:   amdgcn-amd-amdhsa--gfx950
amdhsa.version:
  - 1
  - 2
...

	.end_amdgpu_metadata
